;; amdgpu-corpus repo=ROCm/rocFFT kind=compiled arch=gfx1030 opt=O3
	.text
	.amdgcn_target "amdgcn-amd-amdhsa--gfx1030"
	.amdhsa_code_object_version 6
	.protected	fft_rtc_back_len4050_factors_10_5_3_3_3_3_wgs_135_tpt_135_halfLds_half_ip_CI_sbrr_dirReg ; -- Begin function fft_rtc_back_len4050_factors_10_5_3_3_3_3_wgs_135_tpt_135_halfLds_half_ip_CI_sbrr_dirReg
	.globl	fft_rtc_back_len4050_factors_10_5_3_3_3_3_wgs_135_tpt_135_halfLds_half_ip_CI_sbrr_dirReg
	.p2align	8
	.type	fft_rtc_back_len4050_factors_10_5_3_3_3_3_wgs_135_tpt_135_halfLds_half_ip_CI_sbrr_dirReg,@function
fft_rtc_back_len4050_factors_10_5_3_3_3_3_wgs_135_tpt_135_halfLds_half_ip_CI_sbrr_dirReg: ; @fft_rtc_back_len4050_factors_10_5_3_3_3_3_wgs_135_tpt_135_halfLds_half_ip_CI_sbrr_dirReg
; %bb.0:
	s_clause 0x2
	s_load_dwordx2 s[14:15], s[4:5], 0x18
	s_load_dwordx4 s[8:11], s[4:5], 0x0
	s_load_dwordx2 s[12:13], s[4:5], 0x50
	v_mul_u32_u24_e32 v1, 0x1e6, v0
	v_mov_b32_e32 v3, 0
	v_add_nc_u32_sdwa v5, s6, v1 dst_sel:DWORD dst_unused:UNUSED_PAD src0_sel:DWORD src1_sel:WORD_1
	v_mov_b32_e32 v1, 0
	v_mov_b32_e32 v6, v3
	v_mov_b32_e32 v2, 0
	s_waitcnt lgkmcnt(0)
	s_load_dwordx2 s[2:3], s[14:15], 0x0
	v_cmp_lt_u64_e64 s0, s[10:11], 2
	s_and_b32 vcc_lo, exec_lo, s0
	s_cbranch_vccnz .LBB0_8
; %bb.1:
	s_load_dwordx2 s[0:1], s[4:5], 0x10
	v_mov_b32_e32 v1, 0
	s_add_u32 s6, s14, 8
	v_mov_b32_e32 v2, 0
	s_addc_u32 s7, s15, 0
	s_mov_b64 s[18:19], 1
	s_waitcnt lgkmcnt(0)
	s_add_u32 s16, s0, 8
	s_addc_u32 s17, s1, 0
.LBB0_2:                                ; =>This Inner Loop Header: Depth=1
	s_load_dwordx2 s[20:21], s[16:17], 0x0
                                        ; implicit-def: $vgpr7_vgpr8
	s_mov_b32 s0, exec_lo
	s_waitcnt lgkmcnt(0)
	v_or_b32_e32 v4, s21, v6
	v_cmpx_ne_u64_e32 0, v[3:4]
	s_xor_b32 s1, exec_lo, s0
	s_cbranch_execz .LBB0_4
; %bb.3:                                ;   in Loop: Header=BB0_2 Depth=1
	v_cvt_f32_u32_e32 v4, s20
	v_cvt_f32_u32_e32 v7, s21
	s_sub_u32 s0, 0, s20
	s_subb_u32 s22, 0, s21
	v_fmac_f32_e32 v4, 0x4f800000, v7
	v_rcp_f32_e32 v4, v4
	v_mul_f32_e32 v4, 0x5f7ffffc, v4
	v_mul_f32_e32 v7, 0x2f800000, v4
	v_trunc_f32_e32 v7, v7
	v_fmac_f32_e32 v4, 0xcf800000, v7
	v_cvt_u32_f32_e32 v7, v7
	v_cvt_u32_f32_e32 v4, v4
	v_mul_lo_u32 v8, s0, v7
	v_mul_hi_u32 v9, s0, v4
	v_mul_lo_u32 v10, s22, v4
	v_add_nc_u32_e32 v8, v9, v8
	v_mul_lo_u32 v9, s0, v4
	v_add_nc_u32_e32 v8, v8, v10
	v_mul_hi_u32 v10, v4, v9
	v_mul_lo_u32 v11, v4, v8
	v_mul_hi_u32 v12, v4, v8
	v_mul_hi_u32 v13, v7, v9
	v_mul_lo_u32 v9, v7, v9
	v_mul_hi_u32 v14, v7, v8
	v_mul_lo_u32 v8, v7, v8
	v_add_co_u32 v10, vcc_lo, v10, v11
	v_add_co_ci_u32_e32 v11, vcc_lo, 0, v12, vcc_lo
	v_add_co_u32 v9, vcc_lo, v10, v9
	v_add_co_ci_u32_e32 v9, vcc_lo, v11, v13, vcc_lo
	v_add_co_ci_u32_e32 v10, vcc_lo, 0, v14, vcc_lo
	v_add_co_u32 v8, vcc_lo, v9, v8
	v_add_co_ci_u32_e32 v9, vcc_lo, 0, v10, vcc_lo
	v_add_co_u32 v4, vcc_lo, v4, v8
	v_add_co_ci_u32_e32 v7, vcc_lo, v7, v9, vcc_lo
	v_mul_hi_u32 v8, s0, v4
	v_mul_lo_u32 v10, s22, v4
	v_mul_lo_u32 v9, s0, v7
	v_add_nc_u32_e32 v8, v8, v9
	v_mul_lo_u32 v9, s0, v4
	v_add_nc_u32_e32 v8, v8, v10
	v_mul_hi_u32 v10, v4, v9
	v_mul_lo_u32 v11, v4, v8
	v_mul_hi_u32 v12, v4, v8
	v_mul_hi_u32 v13, v7, v9
	v_mul_lo_u32 v9, v7, v9
	v_mul_hi_u32 v14, v7, v8
	v_mul_lo_u32 v8, v7, v8
	v_add_co_u32 v10, vcc_lo, v10, v11
	v_add_co_ci_u32_e32 v11, vcc_lo, 0, v12, vcc_lo
	v_add_co_u32 v9, vcc_lo, v10, v9
	v_add_co_ci_u32_e32 v9, vcc_lo, v11, v13, vcc_lo
	v_add_co_ci_u32_e32 v10, vcc_lo, 0, v14, vcc_lo
	v_add_co_u32 v8, vcc_lo, v9, v8
	v_add_co_ci_u32_e32 v9, vcc_lo, 0, v10, vcc_lo
	v_add_co_u32 v4, vcc_lo, v4, v8
	v_add_co_ci_u32_e32 v11, vcc_lo, v7, v9, vcc_lo
	v_mul_hi_u32 v13, v5, v4
	v_mad_u64_u32 v[9:10], null, v6, v4, 0
	v_mad_u64_u32 v[7:8], null, v5, v11, 0
	;; [unrolled: 1-line block ×3, first 2 shown]
	v_add_co_u32 v4, vcc_lo, v13, v7
	v_add_co_ci_u32_e32 v7, vcc_lo, 0, v8, vcc_lo
	v_add_co_u32 v4, vcc_lo, v4, v9
	v_add_co_ci_u32_e32 v4, vcc_lo, v7, v10, vcc_lo
	v_add_co_ci_u32_e32 v7, vcc_lo, 0, v12, vcc_lo
	v_add_co_u32 v4, vcc_lo, v4, v11
	v_add_co_ci_u32_e32 v9, vcc_lo, 0, v7, vcc_lo
	v_mul_lo_u32 v10, s21, v4
	v_mad_u64_u32 v[7:8], null, s20, v4, 0
	v_mul_lo_u32 v11, s20, v9
	v_sub_co_u32 v7, vcc_lo, v5, v7
	v_add3_u32 v8, v8, v11, v10
	v_sub_nc_u32_e32 v10, v6, v8
	v_subrev_co_ci_u32_e64 v10, s0, s21, v10, vcc_lo
	v_add_co_u32 v11, s0, v4, 2
	v_add_co_ci_u32_e64 v12, s0, 0, v9, s0
	v_sub_co_u32 v13, s0, v7, s20
	v_sub_co_ci_u32_e32 v8, vcc_lo, v6, v8, vcc_lo
	v_subrev_co_ci_u32_e64 v10, s0, 0, v10, s0
	v_cmp_le_u32_e32 vcc_lo, s20, v13
	v_cmp_eq_u32_e64 s0, s21, v8
	v_cndmask_b32_e64 v13, 0, -1, vcc_lo
	v_cmp_le_u32_e32 vcc_lo, s21, v10
	v_cndmask_b32_e64 v14, 0, -1, vcc_lo
	v_cmp_le_u32_e32 vcc_lo, s20, v7
	;; [unrolled: 2-line block ×3, first 2 shown]
	v_cndmask_b32_e64 v15, 0, -1, vcc_lo
	v_cmp_eq_u32_e32 vcc_lo, s21, v10
	v_cndmask_b32_e64 v7, v15, v7, s0
	v_cndmask_b32_e32 v10, v14, v13, vcc_lo
	v_add_co_u32 v13, vcc_lo, v4, 1
	v_add_co_ci_u32_e32 v14, vcc_lo, 0, v9, vcc_lo
	v_cmp_ne_u32_e32 vcc_lo, 0, v10
	v_cndmask_b32_e32 v8, v14, v12, vcc_lo
	v_cndmask_b32_e32 v10, v13, v11, vcc_lo
	v_cmp_ne_u32_e32 vcc_lo, 0, v7
	v_cndmask_b32_e32 v8, v9, v8, vcc_lo
	v_cndmask_b32_e32 v7, v4, v10, vcc_lo
.LBB0_4:                                ;   in Loop: Header=BB0_2 Depth=1
	s_andn2_saveexec_b32 s0, s1
	s_cbranch_execz .LBB0_6
; %bb.5:                                ;   in Loop: Header=BB0_2 Depth=1
	v_cvt_f32_u32_e32 v4, s20
	s_sub_i32 s1, 0, s20
	v_rcp_iflag_f32_e32 v4, v4
	v_mul_f32_e32 v4, 0x4f7ffffe, v4
	v_cvt_u32_f32_e32 v4, v4
	v_mul_lo_u32 v7, s1, v4
	v_mul_hi_u32 v7, v4, v7
	v_add_nc_u32_e32 v4, v4, v7
	v_mul_hi_u32 v4, v5, v4
	v_mul_lo_u32 v7, v4, s20
	v_add_nc_u32_e32 v8, 1, v4
	v_sub_nc_u32_e32 v7, v5, v7
	v_subrev_nc_u32_e32 v9, s20, v7
	v_cmp_le_u32_e32 vcc_lo, s20, v7
	v_cndmask_b32_e32 v7, v7, v9, vcc_lo
	v_cndmask_b32_e32 v4, v4, v8, vcc_lo
	v_cmp_le_u32_e32 vcc_lo, s20, v7
	v_add_nc_u32_e32 v8, 1, v4
	v_cndmask_b32_e32 v7, v4, v8, vcc_lo
	v_mov_b32_e32 v8, v3
.LBB0_6:                                ;   in Loop: Header=BB0_2 Depth=1
	s_or_b32 exec_lo, exec_lo, s0
	s_load_dwordx2 s[0:1], s[6:7], 0x0
	v_mul_lo_u32 v4, v8, s20
	v_mul_lo_u32 v11, v7, s21
	v_mad_u64_u32 v[9:10], null, v7, s20, 0
	s_add_u32 s18, s18, 1
	s_addc_u32 s19, s19, 0
	s_add_u32 s6, s6, 8
	s_addc_u32 s7, s7, 0
	;; [unrolled: 2-line block ×3, first 2 shown]
	v_add3_u32 v4, v10, v11, v4
	v_sub_co_u32 v5, vcc_lo, v5, v9
	v_sub_co_ci_u32_e32 v4, vcc_lo, v6, v4, vcc_lo
	s_waitcnt lgkmcnt(0)
	v_mul_lo_u32 v6, s1, v5
	v_mul_lo_u32 v4, s0, v4
	v_mad_u64_u32 v[1:2], null, s0, v5, v[1:2]
	v_cmp_ge_u64_e64 s0, s[18:19], s[10:11]
	s_and_b32 vcc_lo, exec_lo, s0
	v_add3_u32 v2, v6, v2, v4
	s_cbranch_vccnz .LBB0_9
; %bb.7:                                ;   in Loop: Header=BB0_2 Depth=1
	v_mov_b32_e32 v5, v7
	v_mov_b32_e32 v6, v8
	s_branch .LBB0_2
.LBB0_8:
	v_mov_b32_e32 v8, v6
	v_mov_b32_e32 v7, v5
.LBB0_9:
	s_lshl_b64 s[0:1], s[10:11], 3
	v_mul_hi_u32 v3, 0x1e573ad, v0
	s_add_u32 s0, s14, s0
	s_addc_u32 s1, s15, s1
	s_load_dwordx2 s[4:5], s[4:5], 0x20
	s_load_dwordx2 s[0:1], s[0:1], 0x0
                                        ; implicit-def: $vgpr37
                                        ; implicit-def: $vgpr36
                                        ; implicit-def: $vgpr41
                                        ; implicit-def: $vgpr38
                                        ; implicit-def: $vgpr39
                                        ; implicit-def: $vgpr40
                                        ; implicit-def: $vgpr42
                                        ; implicit-def: $vgpr43
                                        ; implicit-def: $vgpr44
	v_mul_u32_u24_e32 v3, 0x87, v3
	v_sub_nc_u32_e32 v33, v0, v3
	v_add_nc_u32_e32 v32, 0x87, v33
	v_add_nc_u32_e32 v27, 0x10e, v33
	;; [unrolled: 1-line block ×5, first 2 shown]
	s_waitcnt lgkmcnt(0)
	v_cmp_gt_u64_e32 vcc_lo, s[4:5], v[7:8]
	v_mul_lo_u32 v3, s0, v8
	v_mul_lo_u32 v4, s1, v7
	v_mad_u64_u32 v[0:1], null, s0, v7, v[1:2]
	v_cmp_le_u64_e64 s0, s[4:5], v[7:8]
	v_add_nc_u32_e32 v18, 0x2a3, v33
	v_add_nc_u32_e32 v16, 0x3b1, v33
	;; [unrolled: 1-line block ×4, first 2 shown]
	v_add3_u32 v1, v4, v1, v3
	s_and_saveexec_b32 s1, s0
	s_xor_b32 s0, exec_lo, s1
; %bb.10:
	v_add_nc_u32_e32 v37, 0x87, v33
	v_add_nc_u32_e32 v36, 0x10e, v33
	;; [unrolled: 1-line block ×9, first 2 shown]
; %bb.11:
	s_or_saveexec_b32 s1, s0
	v_lshlrev_b64 v[12:13], 2, v[0:1]
	v_add_nc_u32_e32 v29, 0x654, v33
	v_add_nc_u32_e32 v19, 0x7e9, v33
	;; [unrolled: 1-line block ×12, first 2 shown]
                                        ; implicit-def: $vgpr5
                                        ; implicit-def: $vgpr9
                                        ; implicit-def: $vgpr53
                                        ; implicit-def: $vgpr55
                                        ; implicit-def: $vgpr8
                                        ; implicit-def: $vgpr7
                                        ; implicit-def: $vgpr54
                                        ; implicit-def: $vgpr50
                                        ; implicit-def: $vgpr11
                                        ; implicit-def: $vgpr10
                                        ; implicit-def: $vgpr56
                                        ; implicit-def: $vgpr51
                                        ; implicit-def: $vgpr46
                                        ; implicit-def: $vgpr2
                                        ; implicit-def: $vgpr57
                                        ; implicit-def: $vgpr47
                                        ; implicit-def: $vgpr4
                                        ; implicit-def: $vgpr1
                                        ; implicit-def: $vgpr3
                                        ; implicit-def: $vgpr0
                                        ; implicit-def: $vgpr72
                                        ; implicit-def: $vgpr65
                                        ; implicit-def: $vgpr89
                                        ; implicit-def: $vgpr81
                                        ; implicit-def: $vgpr77
                                        ; implicit-def: $vgpr66
                                        ; implicit-def: $vgpr90
                                        ; implicit-def: $vgpr80
                                        ; implicit-def: $vgpr78
                                        ; implicit-def: $vgpr48
                                        ; implicit-def: $vgpr91
                                        ; implicit-def: $vgpr59
                                        ; implicit-def: $vgpr79
                                        ; implicit-def: $vgpr49
                                        ; implicit-def: $vgpr92
                                        ; implicit-def: $vgpr64
                                        ; implicit-def: $vgpr69
                                        ; implicit-def: $vgpr45
                                        ; implicit-def: $vgpr61
                                        ; implicit-def: $vgpr6
                                        ; implicit-def: $vgpr75
                                        ; implicit-def: $vgpr71
                                        ; implicit-def: $vgpr84
                                        ; implicit-def: $vgpr73
                                        ; implicit-def: $vgpr76
                                        ; implicit-def: $vgpr60
                                        ; implicit-def: $vgpr85
                                        ; implicit-def: $vgpr67
                                        ; implicit-def: $vgpr82
                                        ; implicit-def: $vgpr62
                                        ; implicit-def: $vgpr86
                                        ; implicit-def: $vgpr68
                                        ; implicit-def: $vgpr83
                                        ; implicit-def: $vgpr63
                                        ; implicit-def: $vgpr87
                                        ; implicit-def: $vgpr70
                                        ; implicit-def: $vgpr74
                                        ; implicit-def: $vgpr58
                                        ; implicit-def: $vgpr93
                                        ; implicit-def: $vgpr52
	s_xor_b32 exec_lo, exec_lo, s1
	s_cbranch_execz .LBB0_13
; %bb.12:
	v_mad_u64_u32 v[5:6], null, s2, v24, 0
	v_mad_u64_u32 v[0:1], null, s2, v33, 0
	;; [unrolled: 1-line block ×4, first 2 shown]
	v_mov_b32_e32 v2, v6
	v_add_nc_u32_e32 v53, 0xa05, v33
	v_mad_u64_u32 v[74:75], null, s2, v25, 0
	v_mad_u64_u32 v[3:4], null, s3, v33, v[1:2]
	v_mov_b32_e32 v1, v8
	v_mad_u64_u32 v[36:37], null, s3, v24, v[2:3]
	v_mad_u64_u32 v[37:38], null, s3, v17, v[1:2]
	;; [unrolled: 1-line block ×3, first 2 shown]
	v_mov_b32_e32 v1, v3
	v_add_co_u32 v3, s0, s12, v12
	v_mov_b32_e32 v2, v10
	v_mov_b32_e32 v6, v36
	;; [unrolled: 1-line block ×3, first 2 shown]
	v_mad_u64_u32 v[36:37], null, s2, v19, 0
	v_mad_u64_u32 v[10:11], null, s3, v14, v[2:3]
	v_mov_b32_e32 v2, v39
	v_add_nc_u32_e32 v11, 0x97e, v33
	v_lshlrev_b64 v[0:1], 2, v[0:1]
	v_add_co_ci_u32_e64 v4, s0, s13, v13, s0
	v_mad_u64_u32 v[39:40], null, s3, v29, v[2:3]
	v_mad_u64_u32 v[40:41], null, s2, v11, 0
	v_mov_b32_e32 v2, v37
	v_lshlrev_b64 v[5:6], 2, v[5:6]
	v_add_co_u32 v0, s0, v3, v0
	v_lshlrev_b64 v[7:8], 2, v[7:8]
	v_mad_u64_u32 v[42:43], null, s3, v19, v[2:3]
	v_mov_b32_e32 v2, v41
	v_mad_u64_u32 v[43:44], null, s2, v30, 0
	v_add_co_ci_u32_e64 v1, s0, v4, v1, s0
	v_mad_u64_u32 v[45:46], null, s3, v11, v[2:3]
	v_add_nc_u32_e32 v11, 0xe3d, v33
	v_add_co_u32 v5, s0, v3, v5
	v_mov_b32_e32 v2, v44
	v_lshlrev_b64 v[9:10], 2, v[9:10]
	v_mad_u64_u32 v[47:48], null, s2, v11, 0
	v_mov_b32_e32 v41, v45
	v_mad_u64_u32 v[44:45], null, s3, v30, v[2:3]
	v_mad_u64_u32 v[45:46], null, s2, v22, 0
	v_mov_b32_e32 v37, v42
	v_add_co_ci_u32_e64 v6, s0, v4, v6, s0
	v_add_co_u32 v7, s0, v3, v7
	v_lshlrev_b64 v[38:39], 2, v[38:39]
	v_mov_b32_e32 v2, v46
	v_add_co_ci_u32_e64 v8, s0, v4, v8, s0
	v_add_co_u32 v9, s0, v3, v9
	v_mad_u64_u32 v[49:50], null, s3, v22, v[2:3]
	v_lshlrev_b64 v[36:37], 2, v[36:37]
	v_mov_b32_e32 v2, v48
	v_add_co_ci_u32_e64 v10, s0, v4, v10, s0
	v_add_co_u32 v38, s0, v3, v38
	v_lshlrev_b64 v[40:41], 2, v[40:41]
	v_add_co_ci_u32_e64 v39, s0, v4, v39, s0
	v_add_co_u32 v36, s0, v3, v36
	v_lshlrev_b64 v[42:43], 2, v[43:44]
	v_mov_b32_e32 v46, v49
	v_mad_u64_u32 v[48:49], null, s3, v11, v[2:3]
	v_mad_u64_u32 v[49:50], null, s2, v32, 0
	v_add_co_ci_u32_e64 v37, s0, v4, v37, s0
	v_add_co_u32 v40, s0, v3, v40
	v_add_co_ci_u32_e64 v41, s0, v4, v41, s0
	v_add_co_u32 v42, s0, v3, v42
	v_add_co_ci_u32_e64 v43, s0, v4, v43, s0
	s_clause 0x7
	global_load_dword v52, v[0:1], off
	global_load_dword v58, v[5:6], off
	;; [unrolled: 1-line block ×8, first 2 shown]
	v_mad_u64_u32 v[5:6], null, s2, v21, 0
	v_mov_b32_e32 v2, v50
	v_mad_u64_u32 v[10:11], null, s2, v16, 0
	v_lshlrev_b64 v[0:1], 2, v[45:46]
	v_mad_u64_u32 v[39:40], null, s2, v34, 0
	v_mad_u64_u32 v[7:8], null, s3, v32, v[2:3]
	v_mov_b32_e32 v2, v6
	v_lshlrev_b64 v[8:9], 2, v[47:48]
	v_add_co_u32 v0, s0, v3, v0
	v_add_co_ci_u32_e64 v1, s0, v4, v1, s0
	v_mad_u64_u32 v[36:37], null, s3, v21, v[2:3]
	v_mov_b32_e32 v50, v7
	v_mov_b32_e32 v2, v11
	v_add_co_u32 v7, s0, v3, v8
	v_add_co_ci_u32_e64 v8, s0, v4, v9, s0
	v_lshlrev_b64 v[37:38], 2, v[49:50]
	v_mov_b32_e32 v6, v36
	v_mad_u64_u32 v[41:42], null, s3, v16, v[2:3]
	v_mad_u64_u32 v[42:43], null, s2, v26, 0
	v_add_co_u32 v36, s0, v3, v37
	v_lshlrev_b64 v[5:6], 2, v[5:6]
	v_add_co_ci_u32_e64 v37, s0, v4, v38, s0
	v_mov_b32_e32 v2, v40
	v_add_nc_u32_e32 v38, 0x870, v33
	v_mov_b32_e32 v11, v41
	v_add_co_u32 v46, s0, v3, v5
	v_mad_u64_u32 v[40:41], null, s3, v34, v[2:3]
	v_mov_b32_e32 v2, v43
	v_mad_u64_u32 v[44:45], null, s2, v38, 0
	v_add_co_ci_u32_e64 v47, s0, v4, v6, s0
	v_lshlrev_b64 v[5:6], 2, v[10:11]
	v_mad_u64_u32 v[9:10], null, s3, v26, v[2:3]
	v_mov_b32_e32 v2, v45
	v_add_co_u32 v10, s0, v3, v5
	v_add_co_ci_u32_e64 v11, s0, v4, v6, s0
	v_lshlrev_b64 v[5:6], 2, v[39:40]
	v_mad_u64_u32 v[38:39], null, s3, v38, v[2:3]
	v_mov_b32_e32 v43, v9
	v_mad_u64_u32 v[39:40], null, s2, v53, 0
	v_add_co_u32 v48, s0, v3, v5
	v_add_co_ci_u32_e64 v49, s0, v4, v6, s0
	v_lshlrev_b64 v[5:6], 2, v[42:43]
	v_mov_b32_e32 v45, v38
	v_mad_u64_u32 v[41:42], null, s2, v28, 0
	v_mov_b32_e32 v2, v40
	v_add_nc_u32_e32 v38, 0xec4, v33
	v_add_co_u32 v50, s0, v3, v5
	v_add_co_ci_u32_e64 v51, s0, v4, v6, s0
	v_lshlrev_b64 v[5:6], 2, v[44:45]
	v_mad_u64_u32 v[43:44], null, s3, v53, v[2:3]
	v_mov_b32_e32 v2, v42
	v_mad_u64_u32 v[53:54], null, s2, v20, 0
	v_add_co_u32 v55, s0, v3, v5
	v_add_co_ci_u32_e64 v56, s0, v4, v6, s0
	v_mad_u64_u32 v[5:6], null, s3, v28, v[2:3]
	s_clause 0x7
	global_load_dword v73, v[0:1], off
	global_load_dword v71, v[7:8], off
	;; [unrolled: 1-line block ×8, first 2 shown]
	v_mov_b32_e32 v40, v43
	v_mad_u64_u32 v[43:44], null, s2, v38, 0
	v_mov_b32_e32 v2, v54
	v_mad_u64_u32 v[46:47], null, s2, v15, 0
	v_mov_b32_e32 v42, v5
	v_lshlrev_b64 v[0:1], 2, v[39:40]
	v_mad_u64_u32 v[7:8], null, s3, v20, v[2:3]
	v_mov_b32_e32 v2, v44
	v_mad_u64_u32 v[8:9], null, s2, v27, 0
	v_lshlrev_b64 v[10:11], 2, v[41:42]
	v_add_co_u32 v0, s0, v3, v0
	v_mad_u64_u32 v[36:37], null, s3, v38, v[2:3]
	v_mad_u64_u32 v[37:38], null, s2, v18, 0
	v_mov_b32_e32 v54, v7
	v_mov_b32_e32 v2, v9
	v_add_co_ci_u32_e64 v1, s0, v4, v1, s0
	v_mov_b32_e32 v44, v36
	v_lshlrev_b64 v[39:40], 2, v[53:54]
	v_mad_u64_u32 v[41:42], null, s3, v27, v[2:3]
	v_mov_b32_e32 v2, v38
	v_add_co_u32 v10, s0, v3, v10
	v_lshlrev_b64 v[42:43], 2, v[43:44]
	v_add_co_ci_u32_e64 v11, s0, v4, v11, s0
	v_add_co_u32 v39, s0, v3, v39
	v_mad_u64_u32 v[50:51], null, s3, v18, v[2:3]
	v_mov_b32_e32 v2, v47
	v_mad_u64_u32 v[53:54], null, s2, v31, 0
	v_add_co_ci_u32_e64 v40, s0, v4, v40, s0
	v_mov_b32_e32 v9, v41
	v_add_co_u32 v41, s0, v3, v42
	v_add_co_ci_u32_e64 v42, s0, v4, v43, s0
	v_mad_u64_u32 v[43:44], null, s3, v15, v[2:3]
	v_mov_b32_e32 v2, v54
	v_mov_b32_e32 v38, v50
	v_mad_u64_u32 v[50:51], null, s2, v23, 0
	v_add_nc_u32_e32 v5, 0x8f7, v33
	v_lshlrev_b64 v[7:8], 2, v[8:9]
	v_mov_b32_e32 v47, v43
	v_mad_u64_u32 v[43:44], null, s3, v31, v[2:3]
	v_lshlrev_b64 v[36:37], 2, v[37:38]
	v_mov_b32_e32 v2, v51
	v_mad_u64_u32 v[55:56], null, s2, v5, 0
	v_add_co_u32 v7, s0, v3, v7
	v_mov_b32_e32 v54, v43
	v_lshlrev_b64 v[43:44], 2, v[46:47]
	v_add_co_ci_u32_e64 v8, s0, v4, v8, s0
	v_add_co_u32 v36, s0, v3, v36
	v_lshlrev_b64 v[46:47], 2, v[53:54]
	v_mad_u64_u32 v[53:54], null, s3, v23, v[2:3]
	v_add_co_ci_u32_e64 v37, s0, v4, v37, s0
	v_add_co_u32 v43, s0, v3, v43
	v_mov_b32_e32 v2, v56
	v_add_co_ci_u32_e64 v44, s0, v4, v44, s0
	v_mov_b32_e32 v51, v53
	v_mad_u64_u32 v[53:54], null, s2, v35, 0
	v_add_co_u32 v56, s0, v3, v46
	v_add_co_ci_u32_e64 v57, s0, v4, v47, s0
	v_mad_u64_u32 v[46:47], null, s3, v5, v[2:3]
	v_mov_b32_e32 v5, v54
	s_clause 0x7
	global_load_dword v80, v[0:1], off
	global_load_dword v66, v[10:11], off
	;; [unrolled: 1-line block ×8, first 2 shown]
	v_add_nc_u32_e32 v41, 0xdb6, v33
	v_add_nc_u32_e32 v44, 0xf4b, v33
	v_lshlrev_b64 v[7:8], 2, v[50:51]
	v_mov_b32_e32 v56, v46
	v_add_co_u32 v7, s0, v3, v7
	v_lshlrev_b64 v[39:40], 2, v[55:56]
	v_add_co_ci_u32_e64 v8, s0, v4, v8, s0
	v_add_co_u32 v39, s0, v3, v39
	v_add_co_ci_u32_e64 v40, s0, v4, v40, s0
	s_waitcnt vmcnt(23)
	v_lshrrev_b32_e32 v93, 16, v52
	s_waitcnt vmcnt(21)
	v_lshrrev_b32_e32 v87, 16, v70
	;; [unrolled: 2-line block ×8, first 2 shown]
	s_waitcnt vmcnt(13)
	v_mad_u64_u32 v[9:10], null, s3, v35, v[5:6]
	v_mov_b32_e32 v5, v75
	v_mad_u64_u32 v[10:11], null, s2, v41, 0
	v_lshrrev_b32_e32 v61, 16, v6
	s_waitcnt vmcnt(12)
	v_lshrrev_b32_e32 v69, 16, v45
	v_mad_u64_u32 v[36:37], null, s3, v25, v[5:6]
	v_mad_u64_u32 v[37:38], null, s2, v44, 0
	v_mov_b32_e32 v5, v11
	v_mov_b32_e32 v54, v9
	s_waitcnt vmcnt(11)
	v_lshrrev_b32_e32 v92, 16, v64
	s_waitcnt vmcnt(10)
	v_lshrrev_b32_e32 v79, 16, v49
	v_mov_b32_e32 v75, v36
	v_mad_u64_u32 v[41:42], null, s3, v41, v[5:6]
	v_mov_b32_e32 v5, v38
	v_lshlrev_b64 v[42:43], 2, v[53:54]
	v_lshlrev_b64 v[53:54], 2, v[74:75]
	v_lshrrev_b32_e32 v74, 16, v58
	v_lshrrev_b32_e32 v75, 16, v71
	v_mad_u64_u32 v[50:51], null, s3, v44, v[5:6]
	v_mov_b32_e32 v11, v41
	v_add_co_u32 v41, s0, v3, v42
	v_add_co_ci_u32_e64 v42, s0, v4, v43, s0
	v_lshlrev_b64 v[9:10], 2, v[10:11]
	v_mov_b32_e32 v38, v50
	v_add_co_u32 v43, s0, v3, v53
	v_add_co_ci_u32_e64 v44, s0, v4, v54, s0
	v_lshlrev_b64 v[36:37], 2, v[37:38]
	v_add_co_u32 v53, s0, v3, v9
	v_add_co_ci_u32_e64 v54, s0, v4, v10, s0
	s_waitcnt vmcnt(9)
	v_lshrrev_b32_e32 v91, 16, v59
	v_add_co_u32 v3, s0, v3, v36
	v_add_co_ci_u32_e64 v4, s0, v4, v37, s0
	s_clause 0x5
	global_load_dword v51, v[7:8], off
	global_load_dword v10, v[39:40], off
	global_load_dword v50, v[41:42], off
	global_load_dword v7, v[43:44], off
	global_load_dword v55, v[53:54], off
	global_load_dword v9, v[3:4], off
	s_waitcnt vmcnt(14)
	v_lshrrev_b32_e32 v78, 16, v48
	v_mov_b32_e32 v44, v14
	v_mov_b32_e32 v43, v15
	;; [unrolled: 1-line block ×9, first 2 shown]
	s_waitcnt vmcnt(13)
	v_lshrrev_b32_e32 v90, 16, v80
	s_waitcnt vmcnt(12)
	v_lshrrev_b32_e32 v77, 16, v66
	;; [unrolled: 2-line block ×14, first 2 shown]
.LBB0_13:
	s_or_b32 exec_lo, exec_lo, s1
	v_add_f16_e32 v88, v67, v68
	v_add_f16_e32 v94, v70, v52
	v_sub_f16_e32 v95, v87, v84
	v_add_f16_e32 v99, v73, v70
	v_sub_f16_e32 v96, v86, v85
	v_fma_f16 v88, -0.5, v88, v52
	v_sub_f16_e32 v97, v70, v68
	v_sub_f16_e32 v98, v73, v67
	v_add_f16_e32 v94, v68, v94
	v_fmac_f16_e32 v52, -0.5, v99
	v_fmamk_f16 v101, v95, 0xbb9c, v88
	v_fmac_f16_e32 v88, 0x3b9c, v95
	v_add_f16_e32 v102, v87, v93
	v_sub_f16_e32 v100, v68, v70
	v_add_f16_e32 v97, v98, v97
	v_add_f16_e32 v94, v67, v94
	v_fmac_f16_e32 v101, 0xb8b4, v96
	v_sub_f16_e32 v98, v67, v73
	v_fmamk_f16 v99, v96, 0x3b9c, v52
	v_fmac_f16_e32 v88, 0x38b4, v96
	v_add_f16_e32 v103, v85, v86
	v_fmac_f16_e32 v52, 0xbb9c, v96
	v_add_f16_e32 v96, v86, v102
	v_add_f16_e32 v94, v73, v94
	;; [unrolled: 1-line block ×3, first 2 shown]
	v_fma_f16 v100, -0.5, v103, v93
	v_sub_f16_e32 v70, v70, v73
	v_add_f16_e32 v73, v85, v96
	v_add_f16_e32 v96, v84, v87
	v_fmac_f16_e32 v101, 0x34f2, v97
	v_fmac_f16_e32 v99, 0xb8b4, v95
	;; [unrolled: 1-line block ×4, first 2 shown]
	v_fmamk_f16 v95, v70, 0x3b9c, v100
	v_sub_f16_e32 v67, v68, v67
	v_sub_f16_e32 v68, v87, v86
	;; [unrolled: 1-line block ×3, first 2 shown]
	v_fmac_f16_e32 v93, -0.5, v96
	v_add_f16_e32 v96, v84, v73
	v_fmac_f16_e32 v100, 0xbb9c, v70
	v_sub_f16_e32 v73, v86, v87
	v_sub_f16_e32 v84, v85, v84
	v_fmac_f16_e32 v95, 0x38b4, v67
	v_add_f16_e32 v68, v97, v68
	v_fmamk_f16 v97, v67, 0xbb9c, v93
	v_fmac_f16_e32 v100, 0xb8b4, v67
	v_add_f16_e32 v73, v84, v73
	v_fmac_f16_e32 v93, 0x3b9c, v67
	v_add_f16_e32 v84, v60, v62
	v_fmac_f16_e32 v95, 0x34f2, v68
	v_fmac_f16_e32 v97, 0x38b4, v70
	;; [unrolled: 1-line block ×4, first 2 shown]
	v_fma_f16 v68, -0.5, v84, v58
	v_add_f16_e32 v70, v71, v63
	v_sub_f16_e32 v84, v83, v75
	v_add_f16_e32 v85, v63, v58
	v_fmac_f16_e32 v97, 0x34f2, v73
	v_fmac_f16_e32 v93, 0x34f2, v73
	v_sub_f16_e32 v73, v82, v76
	v_fmac_f16_e32 v58, -0.5, v70
	v_fmamk_f16 v70, v84, 0xbb9c, v68
	v_fmac_f16_e32 v68, 0x3b9c, v84
	v_add_f16_e32 v67, v62, v85
	v_sub_f16_e32 v85, v63, v62
	v_sub_f16_e32 v86, v71, v60
	v_fmamk_f16 v87, v73, 0x3b9c, v58
	v_fmac_f16_e32 v70, 0xb8b4, v73
	v_fmac_f16_e32 v68, 0x38b4, v73
	;; [unrolled: 1-line block ×3, first 2 shown]
	v_add_f16_e32 v73, v76, v82
	v_fmac_f16_e32 v99, 0x34f2, v98
	v_fmac_f16_e32 v52, 0x34f2, v98
	v_add_f16_e32 v67, v60, v67
	v_sub_f16_e32 v98, v62, v63
	v_sub_f16_e32 v102, v60, v71
	v_add_f16_e32 v85, v86, v85
	v_fmac_f16_e32 v87, 0xb8b4, v84
	v_fmac_f16_e32 v58, 0x38b4, v84
	v_add_f16_e32 v84, v75, v83
	v_fma_f16 v73, -0.5, v73, v74
	v_sub_f16_e32 v63, v63, v71
	v_add_f16_e32 v67, v71, v67
	v_add_f16_e32 v86, v102, v98
	v_fmac_f16_e32 v70, 0x34f2, v85
	v_fmac_f16_e32 v68, 0x34f2, v85
	v_add_f16_e32 v71, v83, v74
	v_sub_f16_e32 v60, v62, v60
	v_fmac_f16_e32 v74, -0.5, v84
	v_fmamk_f16 v62, v63, 0x3b9c, v73
	v_sub_f16_e32 v84, v83, v82
	v_sub_f16_e32 v85, v75, v76
	v_fmac_f16_e32 v87, 0x34f2, v86
	v_fmac_f16_e32 v58, 0x34f2, v86
	v_fmamk_f16 v86, v60, 0xbb9c, v74
	v_sub_f16_e32 v83, v82, v83
	v_sub_f16_e32 v98, v76, v75
	v_fmac_f16_e32 v74, 0x3b9c, v60
	v_fmac_f16_e32 v62, 0x38b4, v60
	v_add_f16_e32 v84, v85, v84
	v_fmac_f16_e32 v86, 0x38b4, v63
	v_add_f16_e32 v83, v98, v83
	v_fmac_f16_e32 v74, 0xb8b4, v63
	v_fmac_f16_e32 v73, 0xbb9c, v63
	v_add_f16_e32 v63, v82, v71
	v_fmac_f16_e32 v62, 0x34f2, v84
	v_fmac_f16_e32 v86, 0x34f2, v83
	;; [unrolled: 1-line block ×4, first 2 shown]
	v_add_f16_e32 v60, v76, v63
	v_mul_f16_e32 v63, 0xb8b4, v62
	v_mul_f16_e32 v71, 0xbb9c, v86
	;; [unrolled: 1-line block ×4, first 2 shown]
	v_fmac_f16_e32 v73, 0x34f2, v84
	v_fmac_f16_e32 v63, 0x3a79, v70
	;; [unrolled: 1-line block ×4, first 2 shown]
	v_mul_f16_e32 v70, 0x38b4, v70
	v_mul_f16_e32 v105, 0xb4f2, v74
	v_add_f16_e32 v82, v101, v63
	v_fmac_f16_e32 v104, 0x34f2, v86
	v_sub_f16_e32 v86, v101, v63
	v_add_f16_e32 v63, v80, v59
	v_add_f16_e32 v102, v75, v60
	v_mul_f16_e32 v103, 0xb8b4, v73
	v_add_f16_e32 v60, v67, v94
	v_add_f16_e32 v83, v99, v71
	;; [unrolled: 1-line block ×3, first 2 shown]
	v_mul_f16_e32 v106, 0xba79, v73
	v_fmac_f16_e32 v70, 0x3a79, v62
	v_fmac_f16_e32 v105, 0x3b9c, v58
	v_sub_f16_e32 v58, v94, v67
	v_sub_f16_e32 v87, v99, v71
	;; [unrolled: 1-line block ×3, first 2 shown]
	v_add_f16_e32 v71, v64, v6
	v_fma_f16 v94, -0.5, v63, v6
	v_sub_f16_e32 v98, v92, v89
	v_fmac_f16_e32 v103, 0xba79, v68
	v_fmac_f16_e32 v106, 0x38b4, v68
	v_add_f16_e32 v73, v102, v96
	v_add_f16_e32 v74, v95, v70
	;; [unrolled: 1-line block ×3, first 2 shown]
	v_sub_f16_e32 v63, v96, v102
	v_sub_f16_e32 v67, v95, v70
	;; [unrolled: 1-line block ×3, first 2 shown]
	v_add_f16_e32 v71, v59, v71
	v_fmamk_f16 v95, v98, 0xbb9c, v94
	v_sub_f16_e32 v96, v91, v90
	v_sub_f16_e32 v97, v64, v59
	;; [unrolled: 1-line block ×3, first 2 shown]
	v_add_f16_e32 v101, v81, v64
	v_fmac_f16_e32 v94, 0x3b9c, v98
	v_add_f16_e32 v85, v88, v103
	v_add_f16_e32 v76, v93, v105
	;; [unrolled: 1-line block ×3, first 2 shown]
	v_sub_f16_e32 v88, v88, v103
	v_sub_f16_e32 v70, v93, v105
	v_add_f16_e32 v93, v80, v71
	v_fmac_f16_e32 v95, 0xb8b4, v96
	v_add_f16_e32 v97, v99, v97
	v_fmac_f16_e32 v6, -0.5, v101
	v_sub_f16_e32 v71, v100, v106
	v_sub_f16_e32 v100, v59, v64
	;; [unrolled: 1-line block ×3, first 2 shown]
	v_fmac_f16_e32 v94, 0x38b4, v96
	v_add_f16_e32 v102, v92, v61
	v_add_f16_e32 v103, v90, v91
	v_fmac_f16_e32 v95, 0x34f2, v97
	v_fmamk_f16 v99, v96, 0x3b9c, v6
	v_add_f16_e32 v100, v101, v100
	v_fmac_f16_e32 v6, 0xbb9c, v96
	v_add_f16_e32 v96, v91, v102
	v_fma_f16 v101, -0.5, v103, v61
	v_sub_f16_e32 v64, v64, v81
	v_fmac_f16_e32 v94, 0x34f2, v97
	v_add_f16_e32 v97, v89, v92
	v_add_f16_e32 v93, v81, v93
	v_fmac_f16_e32 v99, 0xb8b4, v98
	v_fmac_f16_e32 v6, 0x38b4, v98
	v_add_f16_e32 v81, v90, v96
	v_fmamk_f16 v96, v64, 0x3b9c, v101
	v_sub_f16_e32 v59, v59, v80
	v_sub_f16_e32 v80, v92, v91
	;; [unrolled: 1-line block ×3, first 2 shown]
	v_fmac_f16_e32 v61, -0.5, v97
	v_fmac_f16_e32 v101, 0xbb9c, v64
	v_add_f16_e32 v81, v89, v81
	v_fmac_f16_e32 v96, 0x38b4, v59
	v_add_f16_e32 v80, v98, v80
	v_fmamk_f16 v97, v59, 0xbb9c, v61
	v_sub_f16_e32 v91, v91, v92
	v_sub_f16_e32 v89, v90, v89
	v_add_f16_e32 v90, v49, v45
	v_fmac_f16_e32 v101, 0xb8b4, v59
	v_fmac_f16_e32 v61, 0x3b9c, v59
	v_fmac_f16_e32 v96, 0x34f2, v80
	v_fmac_f16_e32 v97, 0x38b4, v64
	v_add_f16_e32 v89, v89, v91
	v_add_f16_e32 v59, v48, v90
	;; [unrolled: 1-line block ×3, first 2 shown]
	v_fmac_f16_e32 v101, 0x34f2, v80
	v_fmac_f16_e32 v61, 0xb8b4, v64
	v_add_f16_e32 v80, v65, v49
	v_fmac_f16_e32 v97, 0x34f2, v89
	v_fma_f16 v64, -0.5, v90, v45
	v_sub_f16_e32 v90, v79, v72
	v_fmac_f16_e32 v61, 0x34f2, v89
	v_sub_f16_e32 v89, v78, v77
	v_fmac_f16_e32 v45, -0.5, v80
	v_fmac_f16_e32 v99, 0x34f2, v100
	v_fmamk_f16 v80, v90, 0xbb9c, v64
	v_fmac_f16_e32 v64, 0x3b9c, v90
	v_fmac_f16_e32 v6, 0x34f2, v100
	v_fmamk_f16 v98, v89, 0x3b9c, v45
	v_fmac_f16_e32 v45, 0xbb9c, v89
	v_add_f16_e32 v59, v66, v59
	v_sub_f16_e32 v91, v49, v48
	v_sub_f16_e32 v92, v65, v66
	;; [unrolled: 1-line block ×4, first 2 shown]
	v_fmac_f16_e32 v80, 0xb8b4, v89
	v_fmac_f16_e32 v64, 0x38b4, v89
	;; [unrolled: 1-line block ×3, first 2 shown]
	v_add_f16_e32 v89, v77, v78
	v_fmac_f16_e32 v45, 0x38b4, v90
	v_add_f16_e32 v90, v72, v79
	v_add_f16_e32 v59, v65, v59
	;; [unrolled: 1-line block ×4, first 2 shown]
	v_fma_f16 v89, -0.5, v89, v69
	v_sub_f16_e32 v49, v49, v65
	v_add_f16_e32 v65, v79, v69
	v_sub_f16_e32 v48, v48, v66
	v_fmac_f16_e32 v69, -0.5, v90
	v_fmac_f16_e32 v80, 0x34f2, v91
	v_fmac_f16_e32 v64, 0x34f2, v91
	;; [unrolled: 1-line block ×4, first 2 shown]
	v_fmamk_f16 v66, v49, 0x3b9c, v89
	v_sub_f16_e32 v90, v79, v78
	v_sub_f16_e32 v91, v72, v77
	v_fmamk_f16 v92, v48, 0xbb9c, v69
	v_sub_f16_e32 v79, v78, v79
	v_sub_f16_e32 v100, v77, v72
	v_fmac_f16_e32 v69, 0x3b9c, v48
	v_fmac_f16_e32 v89, 0xbb9c, v49
	;; [unrolled: 1-line block ×3, first 2 shown]
	v_add_f16_e32 v90, v91, v90
	v_fmac_f16_e32 v92, 0x38b4, v49
	v_add_f16_e32 v79, v100, v79
	v_fmac_f16_e32 v69, 0xb8b4, v49
	;; [unrolled: 2-line block ×3, first 2 shown]
	v_fmac_f16_e32 v66, 0x34f2, v90
	v_fmac_f16_e32 v92, 0x34f2, v79
	;; [unrolled: 1-line block ×3, first 2 shown]
	v_add_f16_e32 v48, v77, v49
	v_fmac_f16_e32 v89, 0x34f2, v90
	v_mul_f16_e32 v49, 0xb8b4, v66
	v_mul_f16_e32 v65, 0xbb9c, v92
	;; [unrolled: 1-line block ×3, first 2 shown]
	v_add_f16_e32 v48, v72, v48
	v_mul_f16_e32 v72, 0xb8b4, v89
	v_mul_f16_e32 v69, 0xb4f2, v69
	v_fmac_f16_e32 v49, 0x3a79, v80
	v_fmac_f16_e32 v65, 0x34f2, v98
	;; [unrolled: 1-line block ×4, first 2 shown]
	v_mul_f16_e32 v80, 0x38b4, v80
	v_mul_f16_e32 v98, 0x3b9c, v98
	v_fmac_f16_e32 v69, 0x3b9c, v45
	v_add_f16_e32 v45, v50, v51
	v_add_f16_e32 v91, v6, v77
	v_mul_f16_e32 v89, 0xba79, v89
	v_add_f16_e32 v100, v94, v72
	v_fmac_f16_e32 v80, 0x3a79, v66
	v_fmac_f16_e32 v98, 0x34f2, v92
	v_sub_f16_e32 v6, v6, v77
	v_sub_f16_e32 v72, v94, v72
	v_add_f16_e32 v77, v47, v0
	v_fma_f16 v45, -0.5, v45, v0
	v_sub_f16_e32 v92, v57, v53
	v_add_f16_e32 v94, v55, v47
	v_add_f16_e32 v78, v59, v93
	v_fmac_f16_e32 v89, 0x38b4, v64
	v_add_f16_e32 v64, v48, v81
	v_add_f16_e32 v66, v96, v80
	v_sub_f16_e32 v59, v93, v59
	v_sub_f16_e32 v105, v81, v48
	;; [unrolled: 1-line block ×3, first 2 shown]
	v_add_f16_e32 v48, v51, v77
	v_fmamk_f16 v77, v92, 0xbb9c, v45
	v_sub_f16_e32 v80, v56, v54
	v_sub_f16_e32 v81, v47, v51
	;; [unrolled: 1-line block ×3, first 2 shown]
	v_fmac_f16_e32 v0, -0.5, v94
	v_fmac_f16_e32 v45, 0x3b9c, v92
	v_add_f16_e32 v94, v57, v3
	v_add_f16_e32 v79, v95, v49
	;; [unrolled: 1-line block ×4, first 2 shown]
	v_sub_f16_e32 v49, v95, v49
	v_sub_f16_e32 v69, v61, v69
	v_add_f16_e32 v48, v50, v48
	v_fmac_f16_e32 v77, 0xb8b4, v80
	v_add_f16_e32 v61, v93, v81
	v_sub_f16_e32 v108, v101, v89
	v_fmamk_f16 v81, v80, 0x3b9c, v0
	v_sub_f16_e32 v89, v51, v47
	v_sub_f16_e32 v93, v50, v55
	v_fmac_f16_e32 v45, 0x38b4, v80
	v_add_f16_e32 v95, v54, v56
	v_fmac_f16_e32 v0, 0xbb9c, v80
	v_add_f16_e32 v80, v56, v94
	v_add_f16_e32 v48, v55, v48
	;; [unrolled: 1-line block ×3, first 2 shown]
	v_fma_f16 v93, -0.5, v95, v3
	v_sub_f16_e32 v47, v47, v55
	v_add_f16_e32 v55, v54, v80
	v_add_f16_e32 v80, v53, v57
	v_fmac_f16_e32 v77, 0x34f2, v61
	v_fmac_f16_e32 v81, 0xb8b4, v92
	;; [unrolled: 1-line block ×4, first 2 shown]
	v_fmamk_f16 v61, v47, 0x3b9c, v93
	v_sub_f16_e32 v50, v51, v50
	v_sub_f16_e32 v51, v57, v56
	;; [unrolled: 1-line block ×3, first 2 shown]
	v_fmac_f16_e32 v3, -0.5, v80
	v_fmac_f16_e32 v93, 0xbb9c, v47
	v_add_f16_e32 v55, v53, v55
	v_fmac_f16_e32 v61, 0x38b4, v50
	v_add_f16_e32 v51, v92, v51
	v_fmamk_f16 v80, v50, 0xbb9c, v3
	v_sub_f16_e32 v56, v56, v57
	v_sub_f16_e32 v53, v54, v53
	v_add_f16_e32 v54, v2, v1
	v_fmac_f16_e32 v93, 0xb8b4, v50
	v_fmac_f16_e32 v3, 0x3b9c, v50
	;; [unrolled: 1-line block ×4, first 2 shown]
	v_add_f16_e32 v53, v53, v56
	v_add_f16_e32 v50, v10, v54
	;; [unrolled: 1-line block ×3, first 2 shown]
	v_fmac_f16_e32 v93, 0x34f2, v51
	v_fmac_f16_e32 v3, 0xb8b4, v47
	v_add_f16_e32 v51, v9, v2
	v_fmac_f16_e32 v80, 0x34f2, v53
	v_add_f16_e32 v47, v7, v50
	v_fma_f16 v50, -0.5, v54, v1
	v_sub_f16_e32 v54, v46, v5
	v_fmac_f16_e32 v3, 0x34f2, v53
	v_sub_f16_e32 v53, v11, v8
	v_fmac_f16_e32 v1, -0.5, v51
	v_fmac_f16_e32 v81, 0x34f2, v89
	v_fmac_f16_e32 v0, 0x34f2, v89
	v_fmamk_f16 v51, v54, 0xbb9c, v50
	v_fmac_f16_e32 v50, 0x3b9c, v54
	v_fmamk_f16 v89, v53, 0x3b9c, v1
	v_fmac_f16_e32 v1, 0xbb9c, v53
	v_sub_f16_e32 v56, v2, v10
	v_sub_f16_e32 v57, v9, v7
	;; [unrolled: 1-line block ×4, first 2 shown]
	v_fmac_f16_e32 v51, 0xb8b4, v53
	v_fmac_f16_e32 v50, 0x38b4, v53
	;; [unrolled: 1-line block ×3, first 2 shown]
	v_add_f16_e32 v53, v8, v11
	v_fmac_f16_e32 v1, 0x38b4, v54
	v_add_f16_e32 v54, v5, v46
	v_add_f16_e32 v47, v9, v47
	v_add_f16_e32 v56, v57, v56
	v_add_f16_e32 v57, v94, v92
	v_fma_f16 v53, -0.5, v53, v4
	v_sub_f16_e32 v2, v2, v9
	v_add_f16_e32 v9, v46, v4
	v_sub_f16_e32 v7, v10, v7
	v_fmac_f16_e32 v4, -0.5, v54
	v_fmac_f16_e32 v89, 0x34f2, v57
	v_fmac_f16_e32 v1, 0x34f2, v57
	v_sub_f16_e32 v54, v46, v11
	v_sub_f16_e32 v46, v11, v46
	v_fmamk_f16 v57, v7, 0xbb9c, v4
	v_sub_f16_e32 v92, v8, v5
	v_fmac_f16_e32 v4, 0x3b9c, v7
	v_fmac_f16_e32 v51, 0x34f2, v56
	;; [unrolled: 1-line block ×3, first 2 shown]
	v_fmamk_f16 v10, v2, 0x3b9c, v53
	v_sub_f16_e32 v56, v5, v8
	v_add_f16_e32 v46, v92, v46
	v_fmac_f16_e32 v4, 0xb8b4, v2
	v_fmac_f16_e32 v53, 0xbb9c, v2
	;; [unrolled: 1-line block ×3, first 2 shown]
	v_add_f16_e32 v54, v56, v54
	v_fmac_f16_e32 v57, 0x38b4, v2
	v_fmac_f16_e32 v4, 0x34f2, v46
	v_add_f16_e32 v2, v11, v9
	v_fmac_f16_e32 v53, 0xb8b4, v7
	v_fmac_f16_e32 v10, 0x34f2, v54
	;; [unrolled: 1-line block ×3, first 2 shown]
	v_mul_f16_e32 v9, 0xbb9c, v4
	v_add_f16_e32 v2, v8, v2
	v_fmac_f16_e32 v53, 0x34f2, v54
	v_mul_f16_e32 v7, 0xb8b4, v10
	v_mul_f16_e32 v46, 0x38b4, v51
	v_fmac_f16_e32 v9, 0xb4f2, v1
	v_add_f16_e32 v2, v5, v2
	v_mul_f16_e32 v5, 0xb8b4, v53
	v_fmac_f16_e32 v7, 0x3a79, v51
	v_mul_f16_e32 v51, 0x3b9c, v89
	v_mul_f16_e32 v8, 0xbb9c, v57
	v_add_f16_e32 v92, v0, v9
	v_fmac_f16_e32 v46, 0x3a79, v10
	v_sub_f16_e32 v0, v0, v9
	v_mul_u32_u24_e32 v9, 10, v33
	v_mul_f16_e32 v53, 0xba79, v53
	v_fmac_f16_e32 v51, 0x34f2, v57
	v_fmac_f16_e32 v5, 0xba79, v50
	v_mul_f16_e32 v4, 0xb4f2, v4
	v_fmac_f16_e32 v8, 0x34f2, v89
	v_add_f16_e32 v11, v47, v48
	v_add_f16_e32 v54, v77, v7
	;; [unrolled: 1-line block ×3, first 2 shown]
	v_sub_f16_e32 v47, v48, v47
	v_sub_f16_e32 v7, v77, v7
	;; [unrolled: 1-line block ×3, first 2 shown]
	v_lshl_add_u32 v9, v9, 1, 0
	v_pack_b32_f16 v46, v83, v84
	v_pack_b32_f16 v48, v60, v82
	v_fmac_f16_e32 v53, 0x38b4, v50
	v_add_f16_e32 v109, v80, v51
	v_sub_f16_e32 v112, v80, v51
	v_pack_b32_f16 v50, v86, v87
	v_pack_b32_f16 v51, v85, v58
	v_pack_b32_f16 v52, v52, v88
	v_add_f16_e32 v90, v99, v65
	v_sub_f16_e32 v65, v99, v65
	v_add_f16_e32 v89, v45, v5
	v_fmac_f16_e32 v4, 0x3b9c, v1
	v_sub_f16_e32 v5, v45, v5
	v_mul_i32_i24_e32 v45, 10, v37
	v_add_f16_e32 v56, v81, v8
	ds_write2_b32 v9, v48, v46 offset1:1
	ds_write2_b32 v9, v51, v50 offset0:2 offset1:3
	ds_write_b32 v9, v52 offset:16
	v_mul_i32_i24_e32 v46, 10, v36
	v_sub_f16_e32 v8, v81, v8
	v_add_f16_e32 v1, v2, v55
	v_add_f16_e32 v110, v3, v4
	;; [unrolled: 1-line block ×3, first 2 shown]
	v_sub_f16_e32 v2, v55, v2
	v_sub_f16_e32 v3, v3, v4
	;; [unrolled: 1-line block ×3, first 2 shown]
	v_lshl_add_u32 v45, v45, 1, 0
	v_pack_b32_f16 v53, v90, v91
	v_pack_b32_f16 v55, v78, v79
	;; [unrolled: 1-line block ×5, first 2 shown]
	v_lshl_add_u32 v46, v46, 1, 0
	v_pack_b32_f16 v50, v56, v92
	v_pack_b32_f16 v11, v11, v54
	;; [unrolled: 1-line block ×5, first 2 shown]
	ds_write2_b32 v45, v55, v53 offset1:1
	ds_write2_b32 v45, v49, v48 offset0:2 offset1:3
	ds_write_b32 v45, v6 offset:16
	ds_write2_b32 v46, v11, v50 offset1:1
	ds_write2_b32 v46, v8, v7 offset0:2 offset1:3
	ds_write_b32 v46, v0 offset:16
	v_mad_i32_i24 v47, 0xffffffee, v33, v9
	v_pack_b32_f16 v0, v75, v76
	v_pack_b32_f16 v5, v73, v74
	v_and_b32_e32 v57, 0xff, v33
	v_lshl_add_u32 v48, v41, 1, 0
	v_lshl_add_u32 v49, v38, 1, 0
	v_mad_i32_i24 v52, 0xffffffee, v36, v46
	v_lshl_add_u32 v50, v39, 1, 0
	v_add_f16_e32 v102, v97, v98
	v_sub_f16_e32 v107, v97, v98
	s_waitcnt lgkmcnt(0)
	s_barrier
	buffer_gl0_inv
	v_mad_i32_i24 v53, 0xffffffee, v37, v45
	ds_read_u16 v88, v47 offset:5400
	ds_read_u16 v83, v47 offset:5670
	ds_read_u16 v98, v48
	ds_read_u16 v55, v49
	;; [unrolled: 1-line block ×4, first 2 shown]
	ds_read_u16 v94, v47 offset:1890
	ds_read_u16 v91, v47 offset:2160
	ds_read_u16 v89, v47 offset:2430
	ds_read_u16 v81, v47 offset:2700
	v_lshl_add_u32 v51, v40, 1, 0
	ds_read_u16 v92, v47 offset:3780
	ds_read_u16 v87, v47 offset:4050
	;; [unrolled: 1-line block ×4, first 2 shown]
	ds_read_u16 v59, v52
	ds_read_u16 v61, v53
	;; [unrolled: 1-line block ×3, first 2 shown]
	ds_read_u16 v96, v47 offset:3510
	ds_read_u16 v100, v47 offset:3240
	;; [unrolled: 1-line block ×13, first 2 shown]
	s_waitcnt lgkmcnt(0)
	s_barrier
	buffer_gl0_inv
	ds_write2_b32 v9, v5, v0 offset1:1
	v_pack_b32_f16 v0, v67, v68
	v_mul_lo_u16 v8, 0xcd, v57
	v_mov_b32_e32 v67, 0xcccd
	v_pack_b32_f16 v5, v62, v63
	v_pack_b32_f16 v3, v3, v4
	;; [unrolled: 1-line block ×3, first 2 shown]
	v_lshrrev_b16 v62, 11, v8
	v_mul_u32_u24_sdwa v4, v37, v67 dst_sel:DWORD dst_unused:UNUSED_PAD src0_sel:WORD_0 src1_sel:DWORD
	ds_write2_b32 v9, v5, v0 offset0:2 offset1:3
	v_pack_b32_f16 v7, v102, v103
	v_pack_b32_f16 v11, v64, v66
	v_mul_lo_u16 v5, v62, 10
	v_lshrrev_b32_e32 v65, 19, v4
	v_pack_b32_f16 v63, v106, v107
	v_pack_b32_f16 v64, v104, v105
	ds_write_b32 v9, v6 offset:16
	ds_write2_b32 v45, v11, v7 offset1:1
	ds_write2_b32 v45, v64, v63 offset0:2 offset1:3
	v_pack_b32_f16 v0, v69, v108
	v_sub_nc_u16 v63, v33, v5
	v_mov_b32_e32 v64, 4
	v_mul_lo_u16 v4, v65, 10
	v_pack_b32_f16 v6, v109, v110
	v_pack_b32_f16 v1, v1, v10
	;; [unrolled: 1-line block ×4, first 2 shown]
	ds_write_b32 v45, v0 offset:16
	ds_write2_b32 v46, v1, v6 offset1:1
	ds_write2_b32 v46, v2, v7 offset0:2 offset1:3
	v_lshlrev_b32_sdwa v0, v64, v63 dst_sel:DWORD dst_unused:UNUSED_PAD src0_sel:DWORD src1_sel:BYTE_0
	v_sub_nc_u16 v66, v37, v4
	v_mul_u32_u24_sdwa v4, v36, v67 dst_sel:DWORD dst_unused:UNUSED_PAD src0_sel:WORD_0 src1_sel:DWORD
	ds_write_b32 v46, v3 offset:16
	s_waitcnt lgkmcnt(0)
	s_barrier
	buffer_gl0_inv
	global_load_dwordx4 v[0:3], v0, s[8:9]
	v_lshrrev_b32_e32 v68, 19, v4
	v_lshlrev_b32_sdwa v5, v64, v66 dst_sel:DWORD dst_unused:UNUSED_PAD src0_sel:DWORD src1_sel:WORD_0
	v_cmp_gt_u32_e64 s0, 15, v33
	v_mul_lo_u16 v8, v68, 10
	global_load_dwordx4 v[4:7], v5, s[8:9]
	v_sub_nc_u16 v69, v36, v8
	v_mul_u32_u24_sdwa v8, v38, v67 dst_sel:DWORD dst_unused:UNUSED_PAD src0_sel:WORD_0 src1_sel:DWORD
	v_lshlrev_b32_sdwa v9, v64, v69 dst_sel:DWORD dst_unused:UNUSED_PAD src0_sel:DWORD src1_sel:WORD_0
	v_lshrrev_b32_e32 v72, 19, v8
	global_load_dwordx4 v[8:11], v9, s[8:9]
	v_mul_lo_u16 v70, v72, 10
	v_sub_nc_u16 v73, v38, v70
	v_mul_u32_u24_sdwa v70, v39, v67 dst_sel:DWORD dst_unused:UNUSED_PAD src0_sel:WORD_0 src1_sel:DWORD
	v_mul_u32_u24_sdwa v67, v40, v67 dst_sel:DWORD dst_unused:UNUSED_PAD src0_sel:WORD_0 src1_sel:DWORD
	v_lshlrev_b32_sdwa v71, v64, v73 dst_sel:DWORD dst_unused:UNUSED_PAD src0_sel:DWORD src1_sel:WORD_0
	v_lshrrev_b32_e32 v75, 19, v70
	v_lshrrev_b32_e32 v74, 19, v67
	global_load_dwordx4 v[102:105], v71, s[8:9]
	v_mul_lo_u16 v70, v75, 10
	v_sub_nc_u16 v77, v39, v70
	v_mul_lo_u16 v70, v74, 10
	v_lshlrev_b32_sdwa v67, v64, v77 dst_sel:DWORD dst_unused:UNUSED_PAD src0_sel:DWORD src1_sel:WORD_0
	v_sub_nc_u16 v76, v40, v70
	global_load_dwordx4 v[106:109], v67, s[8:9]
	v_lshlrev_b32_sdwa v64, v64, v76 dst_sel:DWORD dst_unused:UNUSED_PAD src0_sel:DWORD src1_sel:WORD_0
	global_load_dwordx4 v[110:113], v64, s[8:9]
	ds_read_u16 v114, v48
	ds_read_u16 v115, v47 offset:3240
	ds_read_u16 v116, v47 offset:1890
	;; [unrolled: 1-line block ×8, first 2 shown]
	ds_read_u16 v70, v49
	ds_read_u16 v67, v50
	;; [unrolled: 1-line block ×3, first 2 shown]
	ds_read_u16 v123, v47 offset:2970
	ds_read_u16 v71, v52
	ds_read_u16 v78, v53
	ds_read_u16 v128, v47 offset:4590
	s_waitcnt vmcnt(5) lgkmcnt(15)
	v_mul_f16_sdwa v124, v114, v0 dst_sel:DWORD dst_unused:UNUSED_PAD src0_sel:DWORD src1_sel:WORD_1
	v_mul_f16_sdwa v125, v98, v0 dst_sel:DWORD dst_unused:UNUSED_PAD src0_sel:DWORD src1_sel:WORD_1
	s_waitcnt lgkmcnt(14)
	v_mul_f16_sdwa v126, v115, v1 dst_sel:DWORD dst_unused:UNUSED_PAD src0_sel:DWORD src1_sel:WORD_1
	v_mul_f16_sdwa v127, v100, v1 dst_sel:DWORD dst_unused:UNUSED_PAD src0_sel:DWORD src1_sel:WORD_1
	s_waitcnt lgkmcnt(7)
	v_mul_f16_sdwa v133, v122, v3 dst_sel:DWORD dst_unused:UNUSED_PAD src0_sel:DWORD src1_sel:WORD_1
	v_fmac_f16_e32 v124, v98, v0
	v_fma_f16 v98, v114, v0, -v125
	v_fmac_f16_e32 v126, v100, v1
	ds_read_u16 v100, v47 offset:6750
	ds_read_u16 v125, v47 offset:7020
	ds_read_u16 v129, v47 offset:7290
	ds_read_u16 v130, v47 offset:7560
	ds_read_u16 v131, v47 offset:7830
	ds_read_u16 v132, v47 offset:6210
	v_mul_f16_sdwa v114, v117, v2 dst_sel:DWORD dst_unused:UNUSED_PAD src0_sel:DWORD src1_sel:WORD_1
	v_mul_f16_sdwa v0, v99, v2 dst_sel:DWORD dst_unused:UNUSED_PAD src0_sel:DWORD src1_sel:WORD_1
	v_fma_f16 v115, v115, v1, -v127
	v_mul_f16_sdwa v1, v101, v3 dst_sel:DWORD dst_unused:UNUSED_PAD src0_sel:DWORD src1_sel:WORD_1
	v_fmac_f16_e32 v133, v101, v3
	v_fmac_f16_e32 v114, v99, v2
	v_fma_f16 v117, v117, v2, -v0
	ds_read_u16 v2, v47 offset:2160
	ds_read_u16 v99, v47 offset:2430
	;; [unrolled: 1-line block ×3, first 2 shown]
	ds_read_u16 v0, v47
	s_waitcnt vmcnt(4)
	v_mul_f16_sdwa v127, v116, v4 dst_sel:DWORD dst_unused:UNUSED_PAD src0_sel:DWORD src1_sel:WORD_1
	v_mul_f16_sdwa v134, v94, v4 dst_sel:DWORD dst_unused:UNUSED_PAD src0_sel:DWORD src1_sel:WORD_1
	ds_read_u16 v135, v47 offset:3780
	v_fma_f16 v122, v122, v3, -v1
	v_mul_f16_sdwa v1, v96, v5 dst_sel:DWORD dst_unused:UNUSED_PAD src0_sel:DWORD src1_sel:WORD_1
	v_mul_f16_sdwa v136, v118, v5 dst_sel:DWORD dst_unused:UNUSED_PAD src0_sel:DWORD src1_sel:WORD_1
	v_fmac_f16_e32 v127, v94, v4
	v_fma_f16 v94, v116, v4, -v134
	v_mul_f16_sdwa v3, v95, v6 dst_sel:DWORD dst_unused:UNUSED_PAD src0_sel:DWORD src1_sel:WORD_1
	v_fma_f16 v116, v118, v5, -v1
	s_waitcnt lgkmcnt(10)
	v_mul_f16_sdwa v118, v100, v7 dst_sel:DWORD dst_unused:UNUSED_PAD src0_sel:DWORD src1_sel:WORD_1
	v_mul_f16_sdwa v1, v97, v7 dst_sel:DWORD dst_unused:UNUSED_PAD src0_sel:DWORD src1_sel:WORD_1
	v_fmac_f16_e32 v136, v96, v5
	v_mul_f16_sdwa v96, v119, v6 dst_sel:DWORD dst_unused:UNUSED_PAD src0_sel:DWORD src1_sel:WORD_1
	s_waitcnt vmcnt(3)
	v_mul_f16_sdwa v137, v120, v10 dst_sel:DWORD dst_unused:UNUSED_PAD src0_sel:DWORD src1_sel:WORD_1
	v_fmac_f16_e32 v118, v97, v7
	v_fma_f16 v97, v100, v7, -v1
	v_mul_f16_sdwa v1, v91, v8 dst_sel:DWORD dst_unused:UNUSED_PAD src0_sel:DWORD src1_sel:WORD_1
	v_fmac_f16_e32 v96, v95, v6
	v_fma_f16 v95, v119, v6, -v3
	ds_read_u16 v3, v47 offset:4050
	ds_read_u16 v4, v47 offset:4320
	s_waitcnt lgkmcnt(6)
	v_mul_f16_sdwa v119, v2, v8 dst_sel:DWORD dst_unused:UNUSED_PAD src0_sel:DWORD src1_sel:WORD_1
	v_fma_f16 v138, v2, v8, -v1
	v_mul_f16_sdwa v1, v88, v10 dst_sel:DWORD dst_unused:UNUSED_PAD src0_sel:DWORD src1_sel:WORD_1
	s_waitcnt lgkmcnt(2)
	v_mul_f16_sdwa v134, v135, v9 dst_sel:DWORD dst_unused:UNUSED_PAD src0_sel:DWORD src1_sel:WORD_1
	v_mul_f16_sdwa v2, v93, v11 dst_sel:DWORD dst_unused:UNUSED_PAD src0_sel:DWORD src1_sel:WORD_1
	;; [unrolled: 1-line block ×3, first 2 shown]
	s_waitcnt vmcnt(2)
	v_mul_f16_sdwa v142, v121, v104 dst_sel:DWORD dst_unused:UNUSED_PAD src0_sel:DWORD src1_sel:WORD_1
	v_fma_f16 v120, v120, v10, -v1
	ds_read_u16 v1, v47 offset:5940
	v_fmac_f16_e32 v134, v92, v9
	v_mul_f16_sdwa v92, v125, v11 dst_sel:DWORD dst_unused:UNUSED_PAD src0_sel:DWORD src1_sel:WORD_1
	v_fma_f16 v125, v125, v11, -v2
	v_mul_f16_sdwa v2, v87, v103 dst_sel:DWORD dst_unused:UNUSED_PAD src0_sel:DWORD src1_sel:WORD_1
	v_fma_f16 v135, v135, v9, -v5
	v_mul_f16_sdwa v5, v89, v102 dst_sel:DWORD dst_unused:UNUSED_PAD src0_sel:DWORD src1_sel:WORD_1
	v_mul_f16_sdwa v143, v129, v105 dst_sel:DWORD dst_unused:UNUSED_PAD src0_sel:DWORD src1_sel:WORD_1
	;; [unrolled: 1-line block ×3, first 2 shown]
	v_fmac_f16_e32 v142, v83, v104
	s_waitcnt lgkmcnt(2)
	v_fma_f16 v144, v3, v103, -v2
	v_mul_f16_sdwa v2, v90, v105 dst_sel:DWORD dst_unused:UNUSED_PAD src0_sel:DWORD src1_sel:WORD_1
	v_fma_f16 v140, v99, v102, -v5
	v_mul_f16_sdwa v141, v3, v103 dst_sel:DWORD dst_unused:UNUSED_PAD src0_sel:DWORD src1_sel:WORD_1
	v_mul_f16_sdwa v5, v83, v104 dst_sel:DWORD dst_unused:UNUSED_PAD src0_sel:DWORD src1_sel:WORD_1
	s_waitcnt vmcnt(1)
	v_mul_f16_sdwa v3, v81, v106 dst_sel:DWORD dst_unused:UNUSED_PAD src0_sel:DWORD src1_sel:WORD_1
	v_fma_f16 v129, v129, v105, -v2
	v_mul_f16_sdwa v2, v80, v108 dst_sel:DWORD dst_unused:UNUSED_PAD src0_sel:DWORD src1_sel:WORD_1
	v_fmac_f16_e32 v143, v90, v105
	v_fma_f16 v121, v121, v104, -v5
	v_mul_f16_sdwa v104, v101, v106 dst_sel:DWORD dst_unused:UNUSED_PAD src0_sel:DWORD src1_sel:WORD_1
	v_fma_f16 v99, v101, v106, -v3
	s_waitcnt lgkmcnt(0)
	v_mul_f16_sdwa v105, v1, v108 dst_sel:DWORD dst_unused:UNUSED_PAD src0_sel:DWORD src1_sel:WORD_1
	v_mul_f16_sdwa v3, v86, v109 dst_sel:DWORD dst_unused:UNUSED_PAD src0_sel:DWORD src1_sel:WORD_1
	v_fma_f16 v101, v1, v108, -v2
	s_waitcnt vmcnt(0)
	v_mul_f16_sdwa v1, v82, v110 dst_sel:DWORD dst_unused:UNUSED_PAD src0_sel:DWORD src1_sel:WORD_1
	v_fmac_f16_e32 v139, v89, v102
	v_fmac_f16_e32 v141, v87, v103
	v_mul_f16_sdwa v103, v4, v107 dst_sel:DWORD dst_unused:UNUSED_PAD src0_sel:DWORD src1_sel:WORD_1
	v_mul_f16_sdwa v5, v84, v107 dst_sel:DWORD dst_unused:UNUSED_PAD src0_sel:DWORD src1_sel:WORD_1
	v_fma_f16 v102, v130, v109, -v3
	v_mul_f16_sdwa v2, v79, v111 dst_sel:DWORD dst_unused:UNUSED_PAD src0_sel:DWORD src1_sel:WORD_1
	v_mul_f16_sdwa v3, v85, v112 dst_sel:DWORD dst_unused:UNUSED_PAD src0_sel:DWORD src1_sel:WORD_1
	v_fma_f16 v83, v123, v110, -v1
	v_add_f16_e32 v1, v126, v114
	v_add_f16_e32 v7, v124, v133
	v_fmac_f16_e32 v119, v91, v8
	v_fmac_f16_e32 v92, v93, v11
	;; [unrolled: 1-line block ×3, first 2 shown]
	v_fma_f16 v100, v4, v107, -v5
	v_fma_f16 v84, v128, v111, -v2
	;; [unrolled: 1-line block ×3, first 2 shown]
	v_mul_f16_sdwa v3, v56, v113 dst_sel:DWORD dst_unused:UNUSED_PAD src0_sel:DWORD src1_sel:WORD_1
	v_sub_f16_e32 v4, v124, v126
	v_fma_f16 v2, -0.5, v1, v60
	v_sub_f16_e32 v1, v98, v122
	v_sub_f16_e32 v6, v133, v114
	;; [unrolled: 1-line block ×3, first 2 shown]
	v_add_f16_e32 v9, v60, v124
	v_fmac_f16_e32 v60, -0.5, v7
	v_fma_f16 v5, v131, v113, -v3
	v_fmamk_f16 v3, v1, 0xbb9c, v2
	v_add_f16_e32 v6, v4, v6
	v_fmac_f16_e32 v2, 0x3b9c, v1
	v_fmamk_f16 v4, v8, 0x3b9c, v60
	v_fmac_f16_e32 v60, 0xbb9c, v8
	v_add_f16_e32 v9, v9, v126
	v_fmac_f16_e32 v3, 0xb8b4, v8
	v_fmac_f16_e32 v2, 0x38b4, v8
	;; [unrolled: 1-line block ×4, first 2 shown]
	v_add_f16_e32 v1, v9, v114
	v_fmac_f16_e32 v137, v88, v10
	v_mul_f16_sdwa v107, v130, v109 dst_sel:DWORD dst_unused:UNUSED_PAD src0_sel:DWORD src1_sel:WORD_1
	v_mul_f16_sdwa v91, v131, v113 dst_sel:DWORD dst_unused:UNUSED_PAD src0_sel:DWORD src1_sel:WORD_1
	v_sub_f16_e32 v7, v126, v124
	v_sub_f16_e32 v10, v114, v133
	v_fmac_f16_e32 v3, 0x34f2, v6
	v_fmac_f16_e32 v2, 0x34f2, v6
	v_add_f16_e32 v9, v1, v133
	v_add_f16_e32 v1, v0, v98
	;; [unrolled: 1-line block ×3, first 2 shown]
	v_fmac_f16_e32 v105, v80, v108
	v_fmac_f16_e32 v107, v86, v109
	v_mul_f16_sdwa v86, v128, v111 dst_sel:DWORD dst_unused:UNUSED_PAD src0_sel:DWORD src1_sel:WORD_1
	v_fmac_f16_e32 v91, v56, v113
	v_add_f16_e32 v7, v7, v10
	v_sub_f16_e32 v56, v124, v133
	v_add_f16_e32 v10, v1, v115
	v_fma_f16 v1, -0.5, v6, v0
	v_add_f16_e32 v80, v98, v122
	v_fmac_f16_e32 v86, v79, v111
	v_fmac_f16_e32 v4, 0x34f2, v7
	v_fmac_f16_e32 v60, 0x34f2, v7
	v_sub_f16_e32 v7, v98, v115
	v_sub_f16_e32 v8, v122, v117
	;; [unrolled: 1-line block ×3, first 2 shown]
	v_fmamk_f16 v6, v56, 0x3b9c, v1
	v_fmac_f16_e32 v1, 0xbb9c, v56
	v_fmac_f16_e32 v0, -0.5, v80
	v_fmac_f16_e32 v104, v81, v106
	v_mul_f16_sdwa v89, v123, v110 dst_sel:DWORD dst_unused:UNUSED_PAD src0_sel:DWORD src1_sel:WORD_1
	v_add_f16_e32 v81, v7, v8
	v_add_f16_e32 v7, v10, v117
	v_sub_f16_e32 v10, v115, v98
	v_fmac_f16_e32 v6, 0x38b4, v79
	v_fmac_f16_e32 v1, 0xb8b4, v79
	v_sub_f16_e32 v80, v117, v122
	v_fmamk_f16 v8, v79, 0xbb9c, v0
	v_fmac_f16_e32 v0, 0x3b9c, v79
	v_add_f16_e32 v79, v136, v96
	v_fmac_f16_e32 v89, v82, v110
	v_mul_f16_sdwa v88, v132, v112 dst_sel:DWORD dst_unused:UNUSED_PAD src0_sel:DWORD src1_sel:WORD_1
	v_fmac_f16_e32 v6, 0x34f2, v81
	v_fmac_f16_e32 v1, 0x34f2, v81
	v_add_f16_e32 v80, v10, v80
	v_sub_f16_e32 v81, v127, v136
	v_sub_f16_e32 v82, v118, v96
	v_fma_f16 v10, -0.5, v79, v61
	v_sub_f16_e32 v79, v94, v97
	v_add_f16_e32 v87, v127, v118
	v_fmac_f16_e32 v88, v85, v112
	v_fmac_f16_e32 v8, 0x38b4, v56
	;; [unrolled: 1-line block ×3, first 2 shown]
	v_add_f16_e32 v56, v81, v82
	v_add_f16_e32 v81, v61, v127
	v_fmamk_f16 v85, v79, 0xbb9c, v10
	v_sub_f16_e32 v82, v116, v95
	v_fmac_f16_e32 v61, -0.5, v87
	v_fmac_f16_e32 v10, 0x3b9c, v79
	v_sub_f16_e32 v90, v136, v127
	v_sub_f16_e32 v93, v96, v118
	v_fmac_f16_e32 v85, 0xb8b4, v82
	v_fmamk_f16 v87, v82, 0x3b9c, v61
	v_fmac_f16_e32 v61, 0xbb9c, v82
	v_fmac_f16_e32 v10, 0x38b4, v82
	v_add_f16_e32 v81, v81, v136
	v_add_f16_e32 v82, v90, v93
	v_fmac_f16_e32 v87, 0xb8b4, v79
	v_fmac_f16_e32 v61, 0x38b4, v79
	v_fmac_f16_e32 v85, 0x34f2, v56
	v_add_f16_e32 v79, v81, v96
	v_fmac_f16_e32 v10, 0x34f2, v56
	v_add_f16_e32 v56, v78, v94
	v_fmac_f16_e32 v87, 0x34f2, v82
	v_fmac_f16_e32 v61, 0x34f2, v82
	v_add_f16_e32 v90, v79, v118
	v_add_f16_e32 v79, v116, v95
	;; [unrolled: 1-line block ×4, first 2 shown]
	v_fmac_f16_e32 v8, 0x34f2, v80
	v_fmac_f16_e32 v0, 0x34f2, v80
	v_sub_f16_e32 v98, v127, v118
	v_sub_f16_e32 v80, v94, v116
	;; [unrolled: 1-line block ×3, first 2 shown]
	v_fma_f16 v79, -0.5, v79, v78
	v_sub_f16_e32 v93, v136, v96
	v_add_f16_e32 v56, v56, v95
	v_fmac_f16_e32 v78, -0.5, v82
	v_add_f16_e32 v96, v80, v81
	v_fmamk_f16 v80, v98, 0x3b9c, v79
	v_fmac_f16_e32 v79, 0xbb9c, v98
	v_sub_f16_e32 v94, v116, v94
	v_add_f16_e32 v81, v56, v97
	v_sub_f16_e32 v56, v95, v97
	v_fmamk_f16 v82, v93, 0xbb9c, v78
	v_fmac_f16_e32 v78, 0x3b9c, v93
	v_fmac_f16_e32 v80, 0x38b4, v93
	;; [unrolled: 1-line block ×3, first 2 shown]
	v_add_f16_e32 v93, v134, v137
	v_add_f16_e32 v56, v94, v56
	v_fmac_f16_e32 v82, 0x38b4, v98
	v_sub_f16_e32 v94, v119, v134
	v_sub_f16_e32 v95, v92, v137
	v_fmac_f16_e32 v78, 0xb8b4, v98
	v_add_f16_e32 v98, v119, v92
	v_fmac_f16_e32 v80, 0x34f2, v96
	v_fmac_f16_e32 v79, 0x34f2, v96
	v_fma_f16 v93, -0.5, v93, v59
	v_sub_f16_e32 v96, v138, v125
	v_add_f16_e32 v94, v94, v95
	v_add_f16_e32 v95, v59, v119
	v_sub_f16_e32 v106, v135, v120
	v_fmac_f16_e32 v59, -0.5, v98
	v_fmamk_f16 v97, v96, 0xbb9c, v93
	v_fmac_f16_e32 v93, 0x3b9c, v96
	v_sub_f16_e32 v108, v134, v119
	v_sub_f16_e32 v109, v137, v92
	v_fmamk_f16 v98, v106, 0x3b9c, v59
	v_fmac_f16_e32 v59, 0xbb9c, v106
	v_add_f16_e32 v95, v95, v134
	v_fmac_f16_e32 v97, 0xb8b4, v106
	v_fmac_f16_e32 v93, 0x38b4, v106
	v_add_f16_e32 v106, v108, v109
	v_fmac_f16_e32 v98, 0xb8b4, v96
	v_fmac_f16_e32 v59, 0x38b4, v96
	;; [unrolled: 1-line block ×4, first 2 shown]
	v_add_f16_e32 v56, v95, v137
	v_fmac_f16_e32 v97, 0x34f2, v94
	v_fmac_f16_e32 v93, 0x34f2, v94
	;; [unrolled: 1-line block ×4, first 2 shown]
	v_add_f16_e32 v106, v56, v92
	v_add_f16_e32 v56, v71, v138
	;; [unrolled: 1-line block ×3, first 2 shown]
	v_sub_f16_e32 v108, v119, v92
	v_add_f16_e32 v110, v138, v125
	v_sub_f16_e32 v95, v138, v135
	v_add_f16_e32 v56, v56, v135
	v_fma_f16 v92, -0.5, v94, v71
	v_sub_f16_e32 v96, v125, v120
	v_sub_f16_e32 v109, v134, v137
	v_fmac_f16_e32 v71, -0.5, v110
	v_add_f16_e32 v56, v56, v120
	v_fmamk_f16 v94, v108, 0x3b9c, v92
	v_fmac_f16_e32 v92, 0xbb9c, v108
	v_add_f16_e32 v111, v95, v96
	v_sub_f16_e32 v110, v135, v138
	v_add_f16_e32 v95, v56, v125
	v_fmac_f16_e32 v94, 0x38b4, v109
	v_fmac_f16_e32 v92, 0xb8b4, v109
	v_sub_f16_e32 v56, v120, v125
	v_fmamk_f16 v96, v109, 0xbb9c, v71
	v_fmac_f16_e32 v71, 0x3b9c, v109
	v_fmac_f16_e32 v94, 0x34f2, v111
	;; [unrolled: 1-line block ×3, first 2 shown]
	v_add_f16_e32 v109, v141, v142
	v_add_f16_e32 v56, v110, v56
	v_fmac_f16_e32 v96, 0x38b4, v108
	v_sub_f16_e32 v110, v139, v141
	v_sub_f16_e32 v111, v143, v142
	v_fmac_f16_e32 v71, 0xb8b4, v108
	v_add_f16_e32 v108, v139, v143
	v_fma_f16 v109, -0.5, v109, v55
	v_sub_f16_e32 v112, v140, v129
	v_add_f16_e32 v110, v110, v111
	v_add_f16_e32 v111, v55, v139
	v_sub_f16_e32 v114, v144, v121
	v_fmac_f16_e32 v55, -0.5, v108
	v_fmamk_f16 v113, v112, 0xbb9c, v109
	v_fmac_f16_e32 v109, 0x3b9c, v112
	v_sub_f16_e32 v108, v141, v139
	v_sub_f16_e32 v115, v142, v143
	v_fmamk_f16 v116, v114, 0x3b9c, v55
	v_fmac_f16_e32 v55, 0xbb9c, v114
	v_add_f16_e32 v111, v111, v141
	v_fmac_f16_e32 v113, 0xb8b4, v114
	v_fmac_f16_e32 v109, 0x38b4, v114
	v_add_f16_e32 v108, v108, v115
	v_fmac_f16_e32 v116, 0xb8b4, v112
	v_fmac_f16_e32 v55, 0x38b4, v112
	;; [unrolled: 1-line block ×4, first 2 shown]
	v_add_f16_e32 v56, v111, v142
	v_fmac_f16_e32 v113, 0x34f2, v110
	v_fmac_f16_e32 v109, 0x34f2, v110
	;; [unrolled: 1-line block ×4, first 2 shown]
	v_add_f16_e32 v108, v56, v143
	v_add_f16_e32 v56, v70, v140
	;; [unrolled: 1-line block ×3, first 2 shown]
	v_sub_f16_e32 v111, v139, v143
	v_sub_f16_e32 v112, v140, v144
	;; [unrolled: 1-line block ×3, first 2 shown]
	v_add_f16_e32 v56, v56, v144
	v_fma_f16 v110, -0.5, v110, v70
	v_add_f16_e32 v117, v140, v129
	v_sub_f16_e32 v115, v141, v142
	v_add_f16_e32 v112, v112, v114
	v_add_f16_e32 v56, v56, v121
	v_fmamk_f16 v114, v111, 0x3b9c, v110
	v_fmac_f16_e32 v110, 0xbb9c, v111
	v_fmac_f16_e32 v70, -0.5, v117
	v_sub_f16_e32 v117, v144, v140
	v_add_f16_e32 v118, v56, v129
	v_fmac_f16_e32 v114, 0x38b4, v115
	v_fmac_f16_e32 v110, 0xb8b4, v115
	v_sub_f16_e32 v56, v121, v129
	v_fmamk_f16 v119, v115, 0xbb9c, v70
	v_fmac_f16_e32 v70, 0x3b9c, v115
	v_fmac_f16_e32 v114, 0x34f2, v112
	;; [unrolled: 1-line block ×3, first 2 shown]
	v_add_f16_e32 v112, v103, v105
	v_add_f16_e32 v56, v117, v56
	v_fmac_f16_e32 v119, 0x38b4, v111
	v_sub_f16_e32 v115, v104, v103
	v_sub_f16_e32 v117, v107, v105
	v_fmac_f16_e32 v70, 0xb8b4, v111
	v_add_f16_e32 v111, v104, v107
	v_add_f16_e32 v7, v7, v122
	v_fma_f16 v112, -0.5, v112, v54
	v_add_f16_e32 v115, v115, v117
	v_add_f16_e32 v117, v54, v104
	v_sub_f16_e32 v122, v100, v101
	v_fmac_f16_e32 v54, -0.5, v111
	v_sub_f16_e32 v120, v99, v102
	v_sub_f16_e32 v111, v103, v104
	;; [unrolled: 1-line block ×3, first 2 shown]
	v_add_f16_e32 v117, v117, v103
	v_fmamk_f16 v124, v122, 0x3b9c, v54
	v_fmac_f16_e32 v54, 0xbb9c, v122
	v_fmac_f16_e32 v119, 0x34f2, v56
	v_add_f16_e32 v111, v111, v123
	v_fmac_f16_e32 v70, 0x34f2, v56
	v_fmac_f16_e32 v124, 0xb8b4, v120
	;; [unrolled: 1-line block ×3, first 2 shown]
	v_add_f16_e32 v56, v117, v105
	v_fmamk_f16 v121, v120, 0xbb9c, v112
	v_fmac_f16_e32 v112, 0x3b9c, v120
	v_fmac_f16_e32 v124, 0x34f2, v111
	;; [unrolled: 1-line block ×3, first 2 shown]
	v_add_f16_e32 v111, v56, v107
	v_add_f16_e32 v56, v67, v99
	v_fmac_f16_e32 v121, 0xb8b4, v122
	v_fmac_f16_e32 v112, 0x38b4, v122
	v_sub_f16_e32 v104, v104, v107
	v_sub_f16_e32 v107, v99, v100
	v_add_f16_e32 v56, v56, v100
	v_fmac_f16_e32 v121, 0x34f2, v115
	v_fmac_f16_e32 v112, 0x34f2, v115
	v_add_f16_e32 v115, v100, v101
	v_sub_f16_e32 v117, v102, v101
	v_add_f16_e32 v56, v56, v101
	v_sub_f16_e32 v103, v103, v105
	v_add_f16_e32 v105, v99, v102
	v_fma_f16 v115, -0.5, v115, v67
	v_sub_f16_e32 v99, v100, v99
	v_add_f16_e32 v120, v56, v102
	v_sub_f16_e32 v56, v101, v102
	v_add_f16_e32 v107, v107, v117
	v_fmamk_f16 v117, v104, 0x3b9c, v115
	v_fmac_f16_e32 v115, 0xbb9c, v104
	v_fmac_f16_e32 v67, -0.5, v105
	v_add_f16_e32 v56, v99, v56
	v_add_f16_e32 v99, v86, v88
	v_fmac_f16_e32 v117, 0x38b4, v103
	v_fmac_f16_e32 v115, 0xb8b4, v103
	v_fmamk_f16 v122, v103, 0xbb9c, v67
	v_fmac_f16_e32 v67, 0x3b9c, v103
	v_sub_f16_e32 v100, v89, v86
	v_sub_f16_e32 v101, v91, v88
	v_add_f16_e32 v102, v89, v91
	v_fma_f16 v99, -0.5, v99, v58
	v_sub_f16_e32 v103, v83, v5
	v_fmac_f16_e32 v122, 0x38b4, v104
	v_fmac_f16_e32 v67, 0xb8b4, v104
	v_add_f16_e32 v100, v100, v101
	v_add_f16_e32 v101, v58, v89
	v_fmac_f16_e32 v58, -0.5, v102
	v_sub_f16_e32 v102, v84, v11
	v_fmamk_f16 v104, v103, 0xbb9c, v99
	v_fmac_f16_e32 v99, 0x3b9c, v103
	v_add_f16_e32 v101, v101, v86
	v_fmac_f16_e32 v122, 0x34f2, v56
	v_fmac_f16_e32 v67, 0x34f2, v56
	;; [unrolled: 1-line block ×4, first 2 shown]
	v_add_f16_e32 v56, v101, v88
	v_fmac_f16_e32 v117, 0x34f2, v107
	v_fmac_f16_e32 v115, 0x34f2, v107
	;; [unrolled: 1-line block ×4, first 2 shown]
	v_add_f16_e32 v100, v84, v11
	v_sub_f16_e32 v105, v86, v89
	v_sub_f16_e32 v107, v88, v91
	v_add_f16_e32 v101, v56, v91
	v_sub_f16_e32 v89, v89, v91
	v_sub_f16_e32 v56, v83, v84
	;; [unrolled: 1-line block ×3, first 2 shown]
	v_fma_f16 v125, -0.5, v100, v64
	v_add_f16_e32 v100, v83, v5
	v_sub_f16_e32 v86, v86, v88
	v_add_f16_e32 v88, v64, v83
	v_add_f16_e32 v91, v56, v91
	v_sub_f16_e32 v83, v84, v83
	v_fmac_f16_e32 v64, -0.5, v100
	v_fmamk_f16 v126, v89, 0x3b9c, v125
	v_add_f16_e32 v56, v88, v84
	v_sub_f16_e32 v84, v11, v5
	v_fmac_f16_e32 v125, 0xbb9c, v89
	v_fmamk_f16 v88, v86, 0xbb9c, v64
	v_fmac_f16_e32 v64, 0x3b9c, v86
	v_add_f16_e32 v11, v56, v11
	v_add_f16_e32 v83, v83, v84
	v_mov_b32_e32 v84, 0x64
	v_mov_b32_e32 v56, 1
	v_fmac_f16_e32 v126, 0x38b4, v86
	v_fmac_f16_e32 v125, 0xb8b4, v86
	;; [unrolled: 1-line block ×4, first 2 shown]
	v_add_f16_e32 v86, v11, v5
	v_mul_u32_u24_sdwa v5, v62, v84 dst_sel:DWORD dst_unused:UNUSED_PAD src0_sel:WORD_0 src1_sel:DWORD
	v_lshlrev_b32_sdwa v11, v56, v63 dst_sel:DWORD dst_unused:UNUSED_PAD src0_sel:DWORD src1_sel:BYTE_0
	v_fmac_f16_e32 v88, 0x34f2, v83
	v_fmac_f16_e32 v64, 0x34f2, v83
	s_barrier
	v_add3_u32 v83, 0, v5, v11
	v_mul_u32_u24_e32 v5, 0x64, v65
	v_lshlrev_b32_sdwa v11, v56, v66 dst_sel:DWORD dst_unused:UNUSED_PAD src0_sel:DWORD src1_sel:WORD_0
	buffer_gl0_inv
	ds_write_b16 v83, v9
	ds_write_b16 v83, v3 offset:20
	ds_write_b16 v83, v4 offset:40
	v_mul_u32_u24_e32 v3, 0x64, v68
	v_lshlrev_b32_sdwa v4, v56, v69 dst_sel:DWORD dst_unused:UNUSED_PAD src0_sel:DWORD src1_sel:WORD_0
	v_add3_u32 v84, 0, v5, v11
	ds_write_b16 v83, v60 offset:60
	ds_write_b16 v83, v2 offset:80
	ds_write_b16 v84, v90
	ds_write_b16 v84, v85 offset:20
	ds_write_b16 v84, v87 offset:40
	v_add3_u32 v68, 0, v3, v4
	v_mul_u32_u24_e32 v2, 0x64, v72
	v_lshlrev_b32_sdwa v3, v56, v73 dst_sel:DWORD dst_unused:UNUSED_PAD src0_sel:DWORD src1_sel:WORD_0
	v_fmamk_f16 v123, v102, 0x3b9c, v58
	v_fmac_f16_e32 v58, 0xbb9c, v102
	v_add_f16_e32 v102, v105, v107
	ds_write_b16 v84, v61 offset:60
	v_add3_u32 v69, 0, v2, v3
	v_mul_u32_u24_e32 v2, 0x64, v75
	v_lshlrev_b32_sdwa v3, v56, v77 dst_sel:DWORD dst_unused:UNUSED_PAD src0_sel:DWORD src1_sel:WORD_0
	v_fmac_f16_e32 v58, 0x38b4, v103
	v_fmac_f16_e32 v123, 0xb8b4, v103
	ds_write_b16 v84, v10 offset:80
	ds_write_b16 v68, v106
	ds_write_b16 v68, v97 offset:20
	ds_write_b16 v68, v98 offset:40
	;; [unrolled: 1-line block ×4, first 2 shown]
	ds_write_b16 v69, v108
	ds_write_b16 v69, v113 offset:20
	v_add3_u32 v72, 0, v2, v3
	v_mul_u32_u24_e32 v2, 0x64, v74
	v_lshlrev_b32_sdwa v3, v56, v76 dst_sel:DWORD dst_unused:UNUSED_PAD src0_sel:DWORD src1_sel:WORD_0
	v_fmac_f16_e32 v58, 0x34f2, v102
	v_fmac_f16_e32 v123, 0x34f2, v102
	ds_write_b16 v69, v116 offset:40
	ds_write_b16 v69, v55 offset:60
	;; [unrolled: 1-line block ×3, first 2 shown]
	ds_write_b16 v72, v111
	v_lshl_add_u32 v11, v42, 1, 0
	v_add3_u32 v85, 0, v2, v3
	ds_write_b16 v72, v121 offset:20
	ds_write_b16 v72, v124 offset:40
	;; [unrolled: 1-line block ×4, first 2 shown]
	ds_write_b16 v85, v101
	ds_write_b16 v85, v104 offset:20
	ds_write_b16 v85, v123 offset:40
	;; [unrolled: 1-line block ×4, first 2 shown]
	s_waitcnt lgkmcnt(0)
	s_barrier
	buffer_gl0_inv
	ds_read_u16 v101, v47 offset:5940
	ds_read_u16 v98, v47 offset:6210
	;; [unrolled: 1-line block ×3, first 2 shown]
	v_lshl_add_u32 v54, v43, 1, 0
	ds_read_u16 v59, v47
	ds_read_u16 v104, v47 offset:2700
	ds_read_u16 v102, v47 offset:2970
	;; [unrolled: 1-line block ×7, first 2 shown]
	ds_read_u16 v5, v51
	ds_read_u16 v3, v11
	;; [unrolled: 1-line block ×3, first 2 shown]
	ds_read_u16 v73, v47 offset:4590
	ds_read_u16 v62, v47 offset:4860
	v_lshl_add_u32 v55, v44, 1, 0
	ds_read_u16 v77, v47 offset:6750
	ds_read_u16 v76, v47 offset:7020
	ds_read_u16 v74, v47 offset:7290
	ds_read_u16 v63, v47 offset:7560
	ds_read_u16 v60, v52
	ds_read_u16 v61, v53
	;; [unrolled: 1-line block ×3, first 2 shown]
	ds_read_u16 v107, v47 offset:5670
	ds_read_u16 v108, v47 offset:5400
	;; [unrolled: 1-line block ×3, first 2 shown]
	ds_read_u16 v10, v50
	ds_read_u16 v58, v49
	;; [unrolled: 1-line block ×3, first 2 shown]
	ds_read_u16 v66, v47 offset:7830
	s_waitcnt lgkmcnt(0)
	s_barrier
	buffer_gl0_inv
	ds_write_b16 v83, v7
	ds_write_b16 v83, v6 offset:20
	ds_write_b16 v83, v8 offset:40
	ds_write_b16 v83, v0 offset:60
	ds_write_b16 v83, v1 offset:80
	ds_write_b16 v84, v81
	ds_write_b16 v84, v80 offset:20
	ds_write_b16 v84, v82 offset:40
	ds_write_b16 v84, v78 offset:60
	ds_write_b16 v84, v79 offset:80
	;; [unrolled: 5-line block ×4, first 2 shown]
	ds_write_b16 v72, v120
	v_mul_lo_u16 v0, v57, 41
	v_fmac_f16_e32 v126, 0x34f2, v91
	v_fmac_f16_e32 v125, 0x34f2, v91
	ds_write_b16 v72, v117 offset:20
	ds_write_b16 v72, v122 offset:40
	;; [unrolled: 1-line block ×4, first 2 shown]
	v_lshrrev_b16 v1, 1, v37
	v_mov_b32_e32 v91, 0x147b
	v_lshrrev_b16 v67, 11, v0
	v_mov_b32_e32 v57, 3
	ds_write_b16 v85, v86
	ds_write_b16 v85, v126 offset:20
	ds_write_b16 v85, v88 offset:40
	;; [unrolled: 1-line block ×4, first 2 shown]
	v_mul_u32_u24_sdwa v0, v1, v91 dst_sel:DWORD dst_unused:UNUSED_PAD src0_sel:WORD_0 src1_sel:DWORD
	v_mul_lo_u16 v1, v67, 50
	s_waitcnt lgkmcnt(0)
	s_barrier
	buffer_gl0_inv
	v_lshrrev_b16 v6, 1, v36
	v_sub_nc_u16 v79, v33, v1
	v_lshrrev_b32_e32 v64, 17, v0
	v_lshrrev_b16 v7, 1, v38
	v_lshrrev_b16 v70, 1, v42
	v_mul_u32_u24_sdwa v0, v6, v91 dst_sel:DWORD dst_unused:UNUSED_PAD src0_sel:WORD_0 src1_sel:DWORD
	v_lshlrev_b32_sdwa v8, v57, v79 dst_sel:DWORD dst_unused:UNUSED_PAD src0_sel:DWORD src1_sel:BYTE_0
	v_mul_lo_u16 v1, v64, 50
	v_lshrrev_b16 v68, 1, v40
	v_lshrrev_b16 v71, 1, v41
	v_lshrrev_b32_e32 v78, 17, v0
	global_load_dwordx2 v[109:110], v8, s[8:9] offset:160
	v_lshrrev_b16 v8, 1, v39
	v_mul_u32_u24_sdwa v0, v7, v91 dst_sel:DWORD dst_unused:UNUSED_PAD src0_sel:WORD_0 src1_sel:DWORD
	v_sub_nc_u16 v80, v37, v1
	v_mul_lo_u16 v1, v78, 50
	v_lshrrev_b16 v72, 1, v43
	v_mul_u32_u24_sdwa v69, v8, v91 dst_sel:DWORD dst_unused:UNUSED_PAD src0_sel:WORD_0 src1_sel:DWORD
	v_lshrrev_b32_e32 v81, 17, v0
	v_lshlrev_b32_sdwa v0, v57, v80 dst_sel:DWORD dst_unused:UNUSED_PAD src0_sel:DWORD src1_sel:WORD_0
	v_sub_nc_u16 v82, v36, v1
	v_mul_u32_u24_sdwa v92, v72, v91 dst_sel:DWORD dst_unused:UNUSED_PAD src0_sel:WORD_0 src1_sel:DWORD
	v_lshrrev_b32_e32 v83, 17, v69
	v_mul_lo_u16 v1, v81, 50
	global_load_dwordx2 v[115:116], v0, s[8:9] offset:160
	v_lshlrev_b32_sdwa v79, v56, v79 dst_sel:DWORD dst_unused:UNUSED_PAD src0_sel:DWORD src1_sel:BYTE_0
	v_lshrrev_b32_e32 v92, 17, v92
	v_mul_lo_u16 v69, v83, 50
	v_sub_nc_u16 v84, v38, v1
	v_mul_u32_u24_sdwa v1, v68, v91 dst_sel:DWORD dst_unused:UNUSED_PAD src0_sel:WORD_0 src1_sel:DWORD
	v_mul_u32_u24_e32 v64, 0x12c, v64
	v_sub_nc_u16 v86, v39, v69
	v_mul_u32_u24_sdwa v69, v70, v91 dst_sel:DWORD dst_unused:UNUSED_PAD src0_sel:WORD_0 src1_sel:DWORD
	v_lshrrev_b32_e32 v85, 17, v1
	v_lshlrev_b32_sdwa v1, v57, v86 dst_sel:DWORD dst_unused:UNUSED_PAD src0_sel:DWORD src1_sel:WORD_0
	v_lshrrev_b32_e32 v89, 17, v69
	v_lshrrev_b16 v69, 1, v44
	global_load_dwordx2 v[122:123], v1, s[8:9] offset:160
	v_mul_lo_u16 v93, v89, 50
	v_lshlrev_b32_sdwa v0, v57, v82 dst_sel:DWORD dst_unused:UNUSED_PAD src0_sel:DWORD src1_sel:WORD_0
	v_sub_nc_u16 v95, v42, v93
	global_load_dwordx2 v[118:119], v0, s[8:9] offset:160
	v_mul_lo_u16 v93, v92, 50
	v_lshlrev_b32_sdwa v96, v57, v95 dst_sel:DWORD dst_unused:UNUSED_PAD src0_sel:DWORD src1_sel:WORD_0
	global_load_dwordx2 v[126:127], v96, s[8:9] offset:160
	v_lshlrev_b32_sdwa v0, v57, v84 dst_sel:DWORD dst_unused:UNUSED_PAD src0_sel:DWORD src1_sel:WORD_0
	global_load_dwordx2 v[120:121], v0, s[8:9] offset:160
	v_mul_lo_u16 v0, v85, 50
	v_sub_nc_u16 v88, v40, v0
	v_mul_u32_u24_sdwa v0, v71, v91 dst_sel:DWORD dst_unused:UNUSED_PAD src0_sel:WORD_0 src1_sel:DWORD
	v_mul_u32_u24_sdwa v91, v69, v91 dst_sel:DWORD dst_unused:UNUSED_PAD src0_sel:WORD_0 src1_sel:DWORD
	v_lshlrev_b32_sdwa v1, v57, v88 dst_sel:DWORD dst_unused:UNUSED_PAD src0_sel:DWORD src1_sel:WORD_0
	v_lshrrev_b32_e32 v87, 17, v0
	v_lshrrev_b32_e32 v91, 17, v91
	global_load_dwordx2 v[0:1], v1, s[8:9] offset:160
	v_mul_lo_u16 v90, v87, 50
	v_sub_nc_u16 v90, v41, v90
	v_lshlrev_b32_sdwa v94, v57, v90 dst_sel:DWORD dst_unused:UNUSED_PAD src0_sel:DWORD src1_sel:WORD_0
	global_load_dwordx2 v[124:125], v94, s[8:9] offset:160
	v_sub_nc_u16 v94, v43, v93
	v_mul_lo_u16 v93, v91, 50
	v_lshlrev_b32_sdwa v96, v57, v94 dst_sel:DWORD dst_unused:UNUSED_PAD src0_sel:DWORD src1_sel:WORD_0
	v_sub_nc_u16 v93, v44, v93
	global_load_dwordx2 v[128:129], v96, s[8:9] offset:160
	v_lshlrev_b32_sdwa v96, v57, v93 dst_sel:DWORD dst_unused:UNUSED_PAD src0_sel:DWORD src1_sel:WORD_0
	global_load_dwordx2 v[130:131], v96, s[8:9] offset:160
	ds_read_u16 v96, v47 offset:2700
	ds_read_u16 v111, v47 offset:5400
	;; [unrolled: 1-line block ×9, first 2 shown]
	ds_read_u16 v99, v47
	ds_read_u16 v139, v47 offset:5940
	ds_read_u16 v140, v47 offset:6210
	;; [unrolled: 1-line block ×4, first 2 shown]
	s_waitcnt vmcnt(9)
	v_mul_f16_sdwa v112, v104, v109 dst_sel:DWORD dst_unused:UNUSED_PAD src0_sel:DWORD src1_sel:WORD_1
	s_waitcnt lgkmcnt(13)
	v_mul_f16_sdwa v138, v96, v109 dst_sel:DWORD dst_unused:UNUSED_PAD src0_sel:DWORD src1_sel:WORD_1
	s_waitcnt lgkmcnt(12)
	v_mul_f16_sdwa v143, v111, v110 dst_sel:DWORD dst_unused:UNUSED_PAD src0_sel:DWORD src1_sel:WORD_1
	v_fma_f16 v96, v96, v109, -v112
	v_fmac_f16_e32 v138, v104, v109
	v_mul_f16_sdwa v104, v108, v110 dst_sel:DWORD dst_unused:UNUSED_PAD src0_sel:DWORD src1_sel:WORD_1
	v_fmac_f16_e32 v143, v108, v110
	v_fma_f16 v144, v111, v110, -v104
	s_waitcnt vmcnt(8) lgkmcnt(11)
	v_mul_f16_sdwa v112, v113, v115 dst_sel:DWORD dst_unused:UNUSED_PAD src0_sel:DWORD src1_sel:WORD_1
	v_mul_f16_sdwa v108, v102, v115 dst_sel:DWORD dst_unused:UNUSED_PAD src0_sel:DWORD src1_sel:WORD_1
	s_waitcnt lgkmcnt(10)
	v_mul_f16_sdwa v114, v132, v116 dst_sel:DWORD dst_unused:UNUSED_PAD src0_sel:DWORD src1_sel:WORD_1
	v_mul_f16_sdwa v104, v107, v116 dst_sel:DWORD dst_unused:UNUSED_PAD src0_sel:DWORD src1_sel:WORD_1
	v_fmac_f16_e32 v112, v102, v115
	v_fma_f16 v117, v113, v115, -v108
	v_fmac_f16_e32 v114, v107, v116
	v_fma_f16 v116, v132, v116, -v104
	s_waitcnt vmcnt(7)
	v_mul_f16_sdwa v109, v103, v122 dst_sel:DWORD dst_unused:UNUSED_PAD src0_sel:DWORD src1_sel:WORD_1
	s_waitcnt vmcnt(6) lgkmcnt(9)
	v_mul_f16_sdwa v102, v133, v118 dst_sel:DWORD dst_unused:UNUSED_PAD src0_sel:DWORD src1_sel:WORD_1
	v_mul_f16_sdwa v107, v106, v118 dst_sel:DWORD dst_unused:UNUSED_PAD src0_sel:DWORD src1_sel:WORD_1
	s_waitcnt lgkmcnt(3)
	v_mul_f16_sdwa v104, v139, v119 dst_sel:DWORD dst_unused:UNUSED_PAD src0_sel:DWORD src1_sel:WORD_1
	v_mul_f16_sdwa v108, v101, v119 dst_sel:DWORD dst_unused:UNUSED_PAD src0_sel:DWORD src1_sel:WORD_1
	v_fmac_f16_e32 v102, v106, v118
	v_fma_f16 v110, v133, v118, -v107
	v_fmac_f16_e32 v104, v101, v119
	v_mul_f16_sdwa v101, v135, v122 dst_sel:DWORD dst_unused:UNUSED_PAD src0_sel:DWORD src1_sel:WORD_1
	v_fma_f16 v108, v139, v119, -v108
	v_fmac_f16_e32 v101, v103, v122
	s_waitcnt vmcnt(4)
	v_mul_f16_sdwa v106, v134, v120 dst_sel:DWORD dst_unused:UNUSED_PAD src0_sel:DWORD src1_sel:WORD_1
	s_waitcnt lgkmcnt(2)
	v_mul_f16_sdwa v111, v140, v121 dst_sel:DWORD dst_unused:UNUSED_PAD src0_sel:DWORD src1_sel:WORD_1
	v_mul_f16_sdwa v107, v105, v120 dst_sel:DWORD dst_unused:UNUSED_PAD src0_sel:DWORD src1_sel:WORD_1
	v_fmac_f16_e32 v106, v105, v120
	v_mul_f16_sdwa v105, v98, v121 dst_sel:DWORD dst_unused:UNUSED_PAD src0_sel:DWORD src1_sel:WORD_1
	v_fmac_f16_e32 v111, v98, v121
	ds_read_u16 v98, v47 offset:6750
	v_fma_f16 v115, v134, v120, -v107
	ds_read_u16 v118, v47 offset:4590
	v_fma_f16 v113, v140, v121, -v105
	ds_read_u16 v120, v47 offset:7020
	ds_read_u16 v121, v47 offset:7290
	v_fma_f16 v107, v135, v122, -v109
	s_waitcnt lgkmcnt(5)
	v_mul_f16_sdwa v105, v141, v123 dst_sel:DWORD dst_unused:UNUSED_PAD src0_sel:DWORD src1_sel:WORD_1
	v_mul_f16_sdwa v109, v97, v123 dst_sel:DWORD dst_unused:UNUSED_PAD src0_sel:DWORD src1_sel:WORD_1
	s_waitcnt vmcnt(3)
	v_mul_f16_sdwa v103, v136, v0 dst_sel:DWORD dst_unused:UNUSED_PAD src0_sel:DWORD src1_sel:WORD_1
	v_mul_f16_sdwa v119, v100, v0 dst_sel:DWORD dst_unused:UNUSED_PAD src0_sel:DWORD src1_sel:WORD_1
	;; [unrolled: 1-line block ×3, first 2 shown]
	v_fmac_f16_e32 v105, v97, v123
	v_fma_f16 v109, v141, v123, -v109
	v_fmac_f16_e32 v103, v100, v0
	ds_read_u16 v97, v47 offset:4860
	ds_read_u16 v100, v47 offset:7560
	;; [unrolled: 1-line block ×3, first 2 shown]
	ds_read_u16 v123, v50
	ds_read_u16 v132, v49
	;; [unrolled: 1-line block ×3, first 2 shown]
	v_fma_f16 v0, v136, v0, -v119
	ds_read_u16 v148, v51
	ds_read_u16 v149, v11
	;; [unrolled: 1-line block ×6, first 2 shown]
	s_waitcnt vmcnt(0) lgkmcnt(0)
	s_barrier
	buffer_gl0_inv
	v_mul_f16_sdwa v134, v98, v1 dst_sel:DWORD dst_unused:UNUSED_PAD src0_sel:DWORD src1_sel:WORD_1
	v_mul_f16_sdwa v139, v137, v124 dst_sel:DWORD dst_unused:UNUSED_PAD src0_sel:DWORD src1_sel:WORD_1
	;; [unrolled: 1-line block ×3, first 2 shown]
	v_fmac_f16_e32 v134, v77, v1
	v_fma_f16 v1, v98, v1, -v135
	v_mul_f16_sdwa v135, v118, v126 dst_sel:DWORD dst_unused:UNUSED_PAD src0_sel:DWORD src1_sel:WORD_1
	v_fmac_f16_e32 v139, v75, v124
	v_fma_f16 v119, v137, v124, -v140
	v_mul_f16_sdwa v124, v120, v125 dst_sel:DWORD dst_unused:UNUSED_PAD src0_sel:DWORD src1_sel:WORD_1
	v_mul_f16_sdwa v75, v76, v125 dst_sel:DWORD dst_unused:UNUSED_PAD src0_sel:DWORD src1_sel:WORD_1
	;; [unrolled: 1-line block ×4, first 2 shown]
	v_fmac_f16_e32 v135, v73, v126
	v_fmac_f16_e32 v124, v76, v125
	v_fma_f16 v120, v120, v125, -v75
	v_fma_f16 v118, v118, v126, -v77
	v_mul_f16_sdwa v73, v74, v127 dst_sel:DWORD dst_unused:UNUSED_PAD src0_sel:DWORD src1_sel:WORD_1
	v_mul_f16_sdwa v125, v97, v128 dst_sel:DWORD dst_unused:UNUSED_PAD src0_sel:DWORD src1_sel:WORD_1
	v_fmac_f16_e32 v136, v74, v127
	v_mul_f16_sdwa v74, v62, v128 dst_sel:DWORD dst_unused:UNUSED_PAD src0_sel:DWORD src1_sel:WORD_1
	v_mul_f16_sdwa v126, v100, v129 dst_sel:DWORD dst_unused:UNUSED_PAD src0_sel:DWORD src1_sel:WORD_1
	v_fma_f16 v121, v121, v127, -v73
	v_fmac_f16_e32 v125, v62, v128
	v_mul_f16_sdwa v62, v63, v129 dst_sel:DWORD dst_unused:UNUSED_PAD src0_sel:DWORD src1_sel:WORD_1
	v_fma_f16 v127, v97, v128, -v74
	v_fmac_f16_e32 v126, v63, v129
	v_mul_f16_sdwa v128, v142, v130 dst_sel:DWORD dst_unused:UNUSED_PAD src0_sel:DWORD src1_sel:WORD_1
	v_mul_f16_sdwa v63, v65, v130 dst_sel:DWORD dst_unused:UNUSED_PAD src0_sel:DWORD src1_sel:WORD_1
	v_fma_f16 v129, v100, v129, -v62
	v_mul_f16_sdwa v62, v66, v131 dst_sel:DWORD dst_unused:UNUSED_PAD src0_sel:DWORD src1_sel:WORD_1
	v_mul_f16_sdwa v137, v122, v131 dst_sel:DWORD dst_unused:UNUSED_PAD src0_sel:DWORD src1_sel:WORD_1
	v_fmac_f16_e32 v128, v65, v130
	v_fma_f16 v130, v142, v130, -v63
	v_add_f16_e32 v63, v138, v143
	v_fma_f16 v122, v122, v131, -v62
	v_add_f16_e32 v62, v96, v144
	v_add_f16_e32 v65, v59, v138
	v_fmac_f16_e32 v137, v66, v131
	v_fmac_f16_e32 v59, -0.5, v63
	v_add_f16_e32 v63, v99, v96
	v_sub_f16_e32 v66, v96, v144
	v_fmac_f16_e32 v99, -0.5, v62
	v_add_f16_e32 v62, v65, v143
	v_add_f16_e32 v65, v112, v114
	;; [unrolled: 1-line block ×8, first 2 shown]
	v_sub_f16_e32 v73, v138, v143
	v_fmamk_f16 v74, v66, 0xbaee, v59
	v_fmac_f16_e32 v59, 0x3aee, v66
	v_add_f16_e32 v66, v61, v112
	v_fmac_f16_e32 v61, -0.5, v65
	v_sub_f16_e32 v65, v117, v116
	v_add_f16_e32 v76, v60, v102
	v_fmac_f16_e32 v60, -0.5, v63
	v_sub_f16_e32 v63, v110, v108
	v_add_f16_e32 v77, v58, v106
	v_fmac_f16_e32 v58, -0.5, v75
	v_sub_f16_e32 v75, v115, v113
	v_add_f16_e32 v98, v10, v101
	v_fmac_f16_e32 v10, -0.5, v96
	v_sub_f16_e32 v96, v107, v109
	v_add_f16_e32 v100, v5, v103
	v_fmac_f16_e32 v5, -0.5, v97
	v_sub_f16_e32 v97, v0, v1
	v_add_f16_e32 v141, v135, v136
	v_add_f16_e32 v142, v9, v139
	v_fmac_f16_e32 v9, -0.5, v140
	v_sub_f16_e32 v140, v119, v120
	v_fmamk_f16 v138, v73, 0x3aee, v99
	v_fmac_f16_e32 v99, 0xbaee, v73
	v_fmamk_f16 v73, v65, 0xbaee, v61
	v_fmac_f16_e32 v61, 0x3aee, v65
	;; [unrolled: 2-line block ×5, first 2 shown]
	v_fmamk_f16 v96, v97, 0xbaee, v5
	v_add_f16_e32 v143, v3, v135
	v_fmac_f16_e32 v3, -0.5, v141
	v_sub_f16_e32 v141, v118, v121
	v_fmac_f16_e32 v5, 0x3aee, v97
	v_fmamk_f16 v97, v140, 0xbaee, v9
	v_fmac_f16_e32 v9, 0x3aee, v140
	v_add_f16_e32 v140, v125, v126
	v_fmamk_f16 v144, v141, 0xbaee, v3
	v_fmac_f16_e32 v3, 0x3aee, v141
	v_add_f16_e32 v141, v2, v125
	v_add_f16_e32 v145, v128, v137
	v_fmac_f16_e32 v2, -0.5, v140
	v_mov_b32_e32 v140, 0x12c
	v_sub_f16_e32 v146, v127, v129
	v_add_f16_e32 v147, v4, v128
	v_fmac_f16_e32 v4, -0.5, v145
	v_sub_f16_e32 v145, v130, v122
	v_mul_u32_u24_sdwa v67, v67, v140 dst_sel:DWORD dst_unused:UNUSED_PAD src0_sel:WORD_0 src1_sel:DWORD
	v_fmamk_f16 v140, v146, 0xbaee, v2
	v_fmac_f16_e32 v2, 0x3aee, v146
	v_fmamk_f16 v146, v145, 0xbaee, v4
	v_fmac_f16_e32 v4, 0x3aee, v145
	v_add3_u32 v145, 0, v67, v79
	v_lshlrev_b32_sdwa v67, v56, v80 dst_sel:DWORD dst_unused:UNUSED_PAD src0_sel:DWORD src1_sel:WORD_0
	ds_write_b16 v145, v62
	ds_write_b16 v145, v74 offset:100
	v_add3_u32 v154, 0, v64, v67
	v_add_f16_e32 v62, v66, v114
	v_lshlrev_b32_sdwa v64, v56, v82 dst_sel:DWORD dst_unused:UNUSED_PAD src0_sel:DWORD src1_sel:WORD_0
	v_mul_u32_u24_e32 v66, 0x12c, v78
	ds_write_b16 v145, v59 offset:200
	v_lshlrev_b32_sdwa v59, v56, v84 dst_sel:DWORD dst_unused:UNUSED_PAD src0_sel:DWORD src1_sel:WORD_0
	v_mul_u32_u24_e32 v67, 0x12c, v81
	ds_write_b16 v154, v62
	v_add3_u32 v82, 0, v66, v64
	v_add_f16_e32 v62, v76, v104
	ds_write_b16 v154, v73 offset:100
	v_add3_u32 v84, 0, v67, v59
	v_add_f16_e32 v59, v77, v111
	ds_write_b16 v154, v61 offset:200
	ds_write_b16 v82, v62
	ds_write_b16 v82, v65 offset:100
	ds_write_b16 v82, v60 offset:200
	ds_write_b16 v84, v59
	v_lshlrev_b32_sdwa v59, v56, v86 dst_sel:DWORD dst_unused:UNUSED_PAD src0_sel:DWORD src1_sel:WORD_0
	v_mul_u32_u24_e32 v60, 0x12c, v83
	v_lshlrev_b32_sdwa v61, v56, v88 dst_sel:DWORD dst_unused:UNUSED_PAD src0_sel:DWORD src1_sel:WORD_0
	v_mul_u32_u24_e32 v62, 0x12c, v85
	ds_write_b16 v84, v63 offset:100
	ds_write_b16 v84, v58 offset:200
	v_add_f16_e32 v58, v98, v105
	v_add3_u32 v83, 0, v60, v59
	v_lshlrev_b32_sdwa v60, v56, v90 dst_sel:DWORD dst_unused:UNUSED_PAD src0_sel:DWORD src1_sel:WORD_0
	v_add3_u32 v85, 0, v62, v61
	v_mul_u32_u24_e32 v61, 0x12c, v87
	v_add_f16_e32 v59, v100, v134
	ds_write_b16 v83, v58
	ds_write_b16 v83, v75 offset:100
	ds_write_b16 v83, v10 offset:200
	ds_write_b16 v85, v59
	v_lshlrev_b32_sdwa v59, v56, v95 dst_sel:DWORD dst_unused:UNUSED_PAD src0_sel:DWORD src1_sel:WORD_0
	v_add3_u32 v10, 0, v61, v60
	v_mul_u32_u24_e32 v60, 0x12c, v89
	v_add_f16_e32 v58, v142, v124
	ds_write_b16 v85, v96 offset:100
	ds_write_b16 v85, v5 offset:200
	ds_write_b16 v10, v58
	ds_write_b16 v10, v97 offset:100
	v_add3_u32 v5, 0, v60, v59
	v_add_f16_e32 v58, v143, v136
	v_lshlrev_b32_sdwa v59, v56, v94 dst_sel:DWORD dst_unused:UNUSED_PAD src0_sel:DWORD src1_sel:WORD_0
	v_mul_u32_u24_e32 v60, 0x12c, v92
	ds_write_b16 v10, v9 offset:200
	v_lshlrev_b32_sdwa v9, v56, v93 dst_sel:DWORD dst_unused:UNUSED_PAD src0_sel:DWORD src1_sel:WORD_0
	v_mul_u32_u24_e32 v61, 0x12c, v91
	ds_write_b16 v5, v58
	v_add3_u32 v86, 0, v60, v59
	v_add_f16_e32 v58, v141, v126
	v_add_f16_e32 v59, v147, v137
	v_add3_u32 v9, 0, v61, v9
	ds_write_b16 v5, v144 offset:100
	ds_write_b16 v5, v3 offset:200
	ds_write_b16 v86, v58
	ds_write_b16 v86, v140 offset:100
	ds_write_b16 v86, v2 offset:200
	ds_write_b16 v9, v59
	ds_write_b16 v9, v146 offset:100
	ds_write_b16 v9, v4 offset:200
	v_add_f16_e32 v2, v117, v116
	v_add_f16_e32 v3, v152, v117
	s_waitcnt lgkmcnt(0)
	s_barrier
	buffer_gl0_inv
	v_fmac_f16_e32 v152, -0.5, v2
	v_sub_f16_e32 v2, v112, v114
	v_add_f16_e32 v3, v3, v116
	ds_read_u16 v93, v47 offset:5940
	ds_read_u16 v90, v47 offset:6210
	;; [unrolled: 1-line block ×3, first 2 shown]
	ds_read_u16 v63, v47
	ds_read_u16 v97, v47 offset:2700
	ds_read_u16 v96, v47 offset:2970
	;; [unrolled: 1-line block ×7, first 2 shown]
	ds_read_u16 v61, v51
	ds_read_u16 v58, v11
	;; [unrolled: 1-line block ×3, first 2 shown]
	ds_read_u16 v76, v47 offset:4590
	ds_read_u16 v73, v47 offset:4860
	;; [unrolled: 1-line block ×6, first 2 shown]
	ds_read_u16 v65, v52
	ds_read_u16 v67, v53
	;; [unrolled: 1-line block ×3, first 2 shown]
	ds_read_u16 v98, v47 offset:5670
	ds_read_u16 v100, v47 offset:5400
	;; [unrolled: 1-line block ×3, first 2 shown]
	ds_read_u16 v64, v50
	ds_read_u16 v66, v49
	ds_read_u16 v62, v48
	ds_read_u16 v79, v47 offset:7830
	s_waitcnt lgkmcnt(0)
	s_barrier
	buffer_gl0_inv
	ds_write_b16 v145, v131
	ds_write_b16 v145, v138 offset:100
	v_fmamk_f16 v4, v2, 0x3aee, v152
	v_fmac_f16_e32 v152, 0xbaee, v2
	ds_write_b16 v145, v99 offset:200
	ds_write_b16 v154, v3
	v_add_f16_e32 v2, v110, v108
	v_add_f16_e32 v3, v115, v113
	ds_write_b16 v154, v4 offset:100
	ds_write_b16 v154, v152 offset:200
	v_add_f16_e32 v4, v151, v110
	v_add_f16_e32 v87, v132, v115
	v_fmac_f16_e32 v151, -0.5, v2
	v_sub_f16_e32 v2, v102, v104
	v_fmac_f16_e32 v132, -0.5, v3
	v_sub_f16_e32 v3, v106, v111
	v_add_f16_e32 v102, v123, v107
	v_add_f16_e32 v4, v4, v108
	v_fmamk_f16 v92, v2, 0x3aee, v151
	v_fmac_f16_e32 v151, 0xbaee, v2
	v_add_f16_e32 v2, v87, v113
	v_add_f16_e32 v87, v107, v109
	v_fmamk_f16 v99, v3, 0x3aee, v132
	v_fmac_f16_e32 v132, 0xbaee, v3
	v_add_f16_e32 v3, v0, v1
	v_add_f16_e32 v0, v148, v0
	v_fmac_f16_e32 v123, -0.5, v87
	v_sub_f16_e32 v87, v101, v105
	v_add_f16_e32 v101, v102, v109
	v_fmac_f16_e32 v148, -0.5, v3
	v_sub_f16_e32 v3, v103, v134
	v_add_f16_e32 v0, v0, v1
	v_add_f16_e32 v1, v119, v120
	v_fmamk_f16 v102, v87, 0x3aee, v123
	v_fmac_f16_e32 v123, 0xbaee, v87
	v_fmamk_f16 v87, v3, 0x3aee, v148
	v_fmac_f16_e32 v148, 0xbaee, v3
	v_add_f16_e32 v3, v118, v121
	v_add_f16_e32 v103, v133, v119
	v_fmac_f16_e32 v133, -0.5, v1
	v_sub_f16_e32 v1, v139, v124
	v_add_f16_e32 v104, v149, v118
	v_fmac_f16_e32 v149, -0.5, v3
	v_sub_f16_e32 v3, v135, v136
	v_add_f16_e32 v103, v103, v120
	v_fmamk_f16 v105, v1, 0x3aee, v133
	v_fmac_f16_e32 v133, 0xbaee, v1
	v_add_f16_e32 v1, v127, v129
	v_fmamk_f16 v106, v3, 0x3aee, v149
	v_fmac_f16_e32 v149, 0xbaee, v3
	v_add_f16_e32 v3, v130, v122
	v_add_f16_e32 v107, v150, v127
	v_fmac_f16_e32 v150, -0.5, v1
	v_sub_f16_e32 v1, v125, v126
	ds_write_b16 v82, v4
	ds_write_b16 v82, v92 offset:100
	ds_write_b16 v82, v151 offset:200
	ds_write_b16 v84, v2
	ds_write_b16 v84, v99 offset:100
	ds_write_b16 v84, v132 offset:200
	;; [unrolled: 3-line block ×5, first 2 shown]
	v_add_nc_u32_e32 v4, -15, v33
	v_mov_b32_e32 v101, 0xda75
	v_add_f16_e32 v104, v104, v121
	v_add_f16_e32 v108, v153, v130
	v_fmac_f16_e32 v153, -0.5, v3
	v_sub_f16_e32 v3, v128, v137
	v_fmamk_f16 v109, v1, 0x3aee, v150
	v_fmac_f16_e32 v150, 0xbaee, v1
	v_lshlrev_b32_e32 v0, 1, v33
	v_mov_b32_e32 v1, 0
	v_cndmask_b32_e64 v4, v4, v37, s0
	v_add_f16_e32 v107, v107, v129
	v_mul_u32_u24_sdwa v6, v6, v101 dst_sel:DWORD dst_unused:UNUSED_PAD src0_sel:WORD_0 src1_sel:DWORD
	v_fmamk_f16 v110, v3, 0x3aee, v153
	v_fmac_f16_e32 v153, 0xbaee, v3
	ds_write_b16 v5, v104
	ds_write_b16 v5, v106 offset:100
	ds_write_b16 v5, v149 offset:200
	ds_write_b16 v86, v107
	v_lshlrev_b64 v[2:3], 2, v[0:1]
	v_lshlrev_b32_e32 v4, 1, v4
	v_mov_b32_e32 v5, v1
	v_add_f16_e32 v108, v108, v122
	v_mul_u32_u24_sdwa v7, v7, v101 dst_sel:DWORD dst_unused:UNUSED_PAD src0_sel:WORD_0 src1_sel:DWORD
	v_lshrrev_b32_e32 v83, 22, v6
	ds_write_b16 v86, v109 offset:100
	ds_write_b16 v86, v150 offset:200
	ds_write_b16 v9, v108
	ds_write_b16 v9, v110 offset:100
	ds_write_b16 v9, v153 offset:200
	v_lshlrev_b64 v[9:10], 2, v[4:5]
	v_add_co_u32 v2, s0, s8, v2
	v_add_co_ci_u32_e64 v3, s0, s9, v3, s0
	v_lshrrev_b32_e32 v82, 22, v7
	v_mul_lo_u16 v7, 0x96, v83
	v_mul_u32_u24_sdwa v8, v8, v101 dst_sel:DWORD dst_unused:UNUSED_PAD src0_sel:WORD_0 src1_sel:DWORD
	v_add_co_u32 v9, s0, s8, v9
	s_waitcnt lgkmcnt(0)
	s_barrier
	buffer_gl0_inv
	global_load_dwordx2 v[5:6], v[2:3], off offset:560
	v_add_co_ci_u32_e64 v10, s0, s9, v10, s0
	v_mul_lo_u16 v85, 0x96, v82
	v_sub_nc_u16 v86, v36, v7
	v_lshrrev_b32_e32 v84, 22, v8
	global_load_dwordx2 v[9:10], v[9:10], off offset:560
	v_mul_u32_u24_sdwa v68, v68, v101 dst_sel:DWORD dst_unused:UNUSED_PAD src0_sel:WORD_0 src1_sel:DWORD
	v_sub_nc_u16 v85, v38, v85
	v_lshlrev_b32_sdwa v7, v57, v86 dst_sel:DWORD dst_unused:UNUSED_PAD src0_sel:DWORD src1_sel:WORD_0
	v_mul_lo_u16 v8, 0x96, v84
	v_mul_u32_u24_sdwa v70, v70, v101 dst_sel:DWORD dst_unused:UNUSED_PAD src0_sel:WORD_0 src1_sel:DWORD
	v_lshrrev_b32_e32 v68, 22, v68
	v_lshlrev_b32_sdwa v92, v57, v85 dst_sel:DWORD dst_unused:UNUSED_PAD src0_sel:DWORD src1_sel:WORD_0
	global_load_dwordx2 v[104:105], v7, s[8:9] offset:560
	v_sub_nc_u16 v87, v39, v8
	v_lshrrev_b32_e32 v70, 22, v70
	v_mul_lo_u16 v8, 0x96, v68
	global_load_dwordx2 v[106:107], v92, s[8:9] offset:560
	v_mul_u32_u24_sdwa v72, v72, v101 dst_sel:DWORD dst_unused:UNUSED_PAD src0_sel:WORD_0 src1_sel:DWORD
	v_lshlrev_b32_sdwa v7, v57, v87 dst_sel:DWORD dst_unused:UNUSED_PAD src0_sel:DWORD src1_sel:WORD_0
	v_mul_lo_u16 v102, 0x96, v70
	v_sub_nc_u16 v92, v40, v8
	v_mul_u32_u24_sdwa v103, v69, v101 dst_sel:DWORD dst_unused:UNUSED_PAD src0_sel:WORD_0 src1_sel:DWORD
	v_lshrrev_b32_e32 v69, 22, v72
	global_load_dwordx2 v[108:109], v7, s[8:9] offset:560
	v_mul_u32_u24_sdwa v7, v71, v101 dst_sel:DWORD dst_unused:UNUSED_PAD src0_sel:WORD_0 src1_sel:DWORD
	v_lshlrev_b32_sdwa v8, v57, v92 dst_sel:DWORD dst_unused:UNUSED_PAD src0_sel:DWORD src1_sel:WORD_0
	v_sub_nc_u16 v101, v42, v102
	v_lshrrev_b32_e32 v72, 22, v103
	v_mul_lo_u16 v102, 0x96, v69
	v_lshrrev_b32_e32 v71, 22, v7
	global_load_dwordx2 v[7:8], v8, s[8:9] offset:560
	v_lshlrev_b32_sdwa v103, v57, v101 dst_sel:DWORD dst_unused:UNUSED_PAD src0_sel:DWORD src1_sel:WORD_0
	v_mul_lo_u16 v72, 0x96, v72
	v_sub_nc_u16 v102, v43, v102
	v_mul_lo_u16 v99, 0x96, v71
	v_cmp_lt_u32_e64 s0, 14, v33
	global_load_dwordx2 v[112:113], v103, s[8:9] offset:560
	v_sub_nc_u16 v72, v44, v72
	v_lshlrev_b32_sdwa v103, v57, v102 dst_sel:DWORD dst_unused:UNUSED_PAD src0_sel:DWORD src1_sel:WORD_0
	v_sub_nc_u16 v99, v41, v99
	v_mul_u32_u24_e32 v68, 0x384, v68
	v_and_b32_e32 v72, 0xffff, v72
	global_load_dwordx2 v[114:115], v103, s[8:9] offset:560
	v_lshlrev_b32_sdwa v110, v57, v99 dst_sel:DWORD dst_unused:UNUSED_PAD src0_sel:DWORD src1_sel:WORD_0
	v_lshlrev_b32_e32 v103, 3, v72
	s_clause 0x1
	global_load_dwordx2 v[110:111], v110, s[8:9] offset:560
	global_load_dwordx2 v[116:117], v103, s[8:9] offset:560
	ds_read_u16 v118, v47 offset:2700
	ds_read_u16 v119, v47 offset:5400
	ds_read_u16 v120, v47 offset:5670
	ds_read_u16 v121, v47 offset:2970
	ds_read_u16 v122, v47 offset:3240
	ds_read_u16 v123, v47 offset:3510
	ds_read_u16 v124, v47 offset:3780
	ds_read_u16 v125, v47 offset:4050
	ds_read_u16 v126, v47 offset:4320
	ds_read_u16 v103, v47
	ds_read_u16 v129, v47 offset:5940
	ds_read_u16 v130, v47 offset:6210
	;; [unrolled: 1-line block ×4, first 2 shown]
	s_waitcnt vmcnt(9) lgkmcnt(13)
	v_mul_f16_sdwa v127, v118, v5 dst_sel:DWORD dst_unused:UNUSED_PAD src0_sel:DWORD src1_sel:WORD_1
	s_waitcnt lgkmcnt(12)
	v_mul_f16_sdwa v133, v119, v6 dst_sel:DWORD dst_unused:UNUSED_PAD src0_sel:DWORD src1_sel:WORD_1
	v_mul_f16_sdwa v128, v97, v5 dst_sel:DWORD dst_unused:UNUSED_PAD src0_sel:DWORD src1_sel:WORD_1
	v_fmac_f16_e32 v127, v97, v5
	v_fmac_f16_e32 v133, v100, v6
	v_mul_f16_sdwa v97, v100, v6 dst_sel:DWORD dst_unused:UNUSED_PAD src0_sel:DWORD src1_sel:WORD_1
	s_waitcnt vmcnt(8) lgkmcnt(10)
	v_mul_f16_sdwa v100, v121, v9 dst_sel:DWORD dst_unused:UNUSED_PAD src0_sel:DWORD src1_sel:WORD_1
	v_fma_f16 v5, v118, v5, -v128
	v_mul_f16_sdwa v118, v96, v9 dst_sel:DWORD dst_unused:UNUSED_PAD src0_sel:DWORD src1_sel:WORD_1
	v_mul_f16_sdwa v128, v120, v10 dst_sel:DWORD dst_unused:UNUSED_PAD src0_sel:DWORD src1_sel:WORD_1
	v_fma_f16 v6, v119, v6, -v97
	v_fmac_f16_e32 v100, v96, v9
	s_waitcnt vmcnt(7) lgkmcnt(9)
	v_mul_f16_sdwa v96, v122, v104 dst_sel:DWORD dst_unused:UNUSED_PAD src0_sel:DWORD src1_sel:WORD_1
	v_mul_f16_sdwa v97, v95, v104 dst_sel:DWORD dst_unused:UNUSED_PAD src0_sel:DWORD src1_sel:WORD_1
	;; [unrolled: 1-line block ×3, first 2 shown]
	v_fma_f16 v9, v121, v9, -v118
	v_fmac_f16_e32 v128, v98, v10
	s_waitcnt lgkmcnt(3)
	v_mul_f16_sdwa v98, v129, v105 dst_sel:DWORD dst_unused:UNUSED_PAD src0_sel:DWORD src1_sel:WORD_1
	v_mul_f16_sdwa v118, v93, v105 dst_sel:DWORD dst_unused:UNUSED_PAD src0_sel:DWORD src1_sel:WORD_1
	s_waitcnt vmcnt(6)
	v_mul_f16_sdwa v119, v123, v106 dst_sel:DWORD dst_unused:UNUSED_PAD src0_sel:DWORD src1_sel:WORD_1
	v_fmac_f16_e32 v96, v95, v104
	v_fma_f16 v95, v122, v104, -v97
	v_mul_f16_sdwa v97, v94, v106 dst_sel:DWORD dst_unused:UNUSED_PAD src0_sel:DWORD src1_sel:WORD_1
	v_fmac_f16_e32 v98, v93, v105
	v_fma_f16 v93, v129, v105, -v118
	v_fmac_f16_e32 v119, v94, v106
	s_waitcnt lgkmcnt(2)
	v_mul_f16_sdwa v94, v130, v107 dst_sel:DWORD dst_unused:UNUSED_PAD src0_sel:DWORD src1_sel:WORD_1
	v_mul_f16_sdwa v104, v90, v107 dst_sel:DWORD dst_unused:UNUSED_PAD src0_sel:DWORD src1_sel:WORD_1
	s_waitcnt vmcnt(5)
	v_mul_f16_sdwa v105, v124, v108 dst_sel:DWORD dst_unused:UNUSED_PAD src0_sel:DWORD src1_sel:WORD_1
	v_fma_f16 v97, v123, v106, -v97
	v_mul_f16_sdwa v106, v91, v108 dst_sel:DWORD dst_unused:UNUSED_PAD src0_sel:DWORD src1_sel:WORD_1
	ds_read_u16 v118, v47 offset:6750
	v_fma_f16 v10, v120, v10, -v134
	v_fmac_f16_e32 v94, v90, v107
	v_fma_f16 v90, v130, v107, -v104
	v_fmac_f16_e32 v105, v91, v108
	v_fma_f16 v104, v124, v108, -v106
	ds_read_u16 v108, v47 offset:7020
	ds_read_u16 v120, v47 offset:4590
	s_waitcnt lgkmcnt(4)
	v_mul_f16_sdwa v91, v131, v109 dst_sel:DWORD dst_unused:UNUSED_PAD src0_sel:DWORD src1_sel:WORD_1
	v_mul_f16_sdwa v106, v88, v109 dst_sel:DWORD dst_unused:UNUSED_PAD src0_sel:DWORD src1_sel:WORD_1
	s_waitcnt vmcnt(4)
	v_mul_f16_sdwa v107, v125, v7 dst_sel:DWORD dst_unused:UNUSED_PAD src0_sel:DWORD src1_sel:WORD_1
	v_mul_f16_sdwa v121, v89, v7 dst_sel:DWORD dst_unused:UNUSED_PAD src0_sel:DWORD src1_sel:WORD_1
	v_fmac_f16_e32 v91, v88, v109
	v_fma_f16 v88, v131, v109, -v106
	v_fmac_f16_e32 v107, v89, v7
	ds_read_u16 v89, v47 offset:7290
	ds_read_u16 v106, v47 offset:7560
	;; [unrolled: 1-line block ×3, first 2 shown]
	ds_read_u16 v122, v50
	ds_read_u16 v123, v49
	;; [unrolled: 1-line block ×3, first 2 shown]
	ds_read_u16 v130, v47 offset:4860
	v_mul_f16_sdwa v131, v81, v8 dst_sel:DWORD dst_unused:UNUSED_PAD src0_sel:DWORD src1_sel:WORD_1
	v_fma_f16 v7, v125, v7, -v121
	s_waitcnt vmcnt(1)
	v_mul_f16_sdwa v121, v126, v110 dst_sel:DWORD dst_unused:UNUSED_PAD src0_sel:DWORD src1_sel:WORD_1
	s_waitcnt lgkmcnt(9)
	v_mul_f16_sdwa v129, v118, v8 dst_sel:DWORD dst_unused:UNUSED_PAD src0_sel:DWORD src1_sel:WORD_1
	v_mul_f16_sdwa v125, v77, v110 dst_sel:DWORD dst_unused:UNUSED_PAD src0_sel:DWORD src1_sel:WORD_1
	v_fmac_f16_e32 v121, v77, v110
	v_fmac_f16_e32 v129, v81, v8
	v_fma_f16 v8, v118, v8, -v131
	s_waitcnt lgkmcnt(8)
	v_mul_f16_sdwa v81, v108, v111 dst_sel:DWORD dst_unused:UNUSED_PAD src0_sel:DWORD src1_sel:WORD_1
	s_waitcnt lgkmcnt(7)
	v_mul_f16_sdwa v118, v120, v112 dst_sel:DWORD dst_unused:UNUSED_PAD src0_sel:DWORD src1_sel:WORD_1
	v_fma_f16 v77, v126, v110, -v125
	v_mul_f16_sdwa v110, v80, v111 dst_sel:DWORD dst_unused:UNUSED_PAD src0_sel:DWORD src1_sel:WORD_1
	s_waitcnt lgkmcnt(6)
	v_mul_f16_sdwa v125, v89, v113 dst_sel:DWORD dst_unused:UNUSED_PAD src0_sel:DWORD src1_sel:WORD_1
	v_fmac_f16_e32 v81, v80, v111
	v_mul_f16_sdwa v80, v76, v112 dst_sel:DWORD dst_unused:UNUSED_PAD src0_sel:DWORD src1_sel:WORD_1
	v_fmac_f16_e32 v118, v76, v112
	v_mul_f16_sdwa v76, v78, v113 dst_sel:DWORD dst_unused:UNUSED_PAD src0_sel:DWORD src1_sel:WORD_1
	v_fma_f16 v108, v108, v111, -v110
	s_waitcnt lgkmcnt(5)
	v_mul_f16_sdwa v111, v106, v115 dst_sel:DWORD dst_unused:UNUSED_PAD src0_sel:DWORD src1_sel:WORD_1
	v_fma_f16 v80, v120, v112, -v80
	ds_read_u16 v120, v51
	v_fma_f16 v76, v89, v113, -v76
	v_mul_f16_sdwa v89, v74, v115 dst_sel:DWORD dst_unused:UNUSED_PAD src0_sel:DWORD src1_sel:WORD_1
	v_fmac_f16_e32 v125, v78, v113
	s_waitcnt lgkmcnt(1)
	v_mul_f16_sdwa v78, v130, v114 dst_sel:DWORD dst_unused:UNUSED_PAD src0_sel:DWORD src1_sel:WORD_1
	v_mul_f16_sdwa v110, v73, v114 dst_sel:DWORD dst_unused:UNUSED_PAD src0_sel:DWORD src1_sel:WORD_1
	v_fmac_f16_e32 v111, v74, v115
	v_fma_f16 v89, v106, v115, -v89
	ds_read_u16 v115, v52
	v_fmac_f16_e32 v78, v73, v114
	v_fma_f16 v73, v130, v114, -v110
	s_waitcnt vmcnt(0)
	v_mul_f16_sdwa v110, v109, v117 dst_sel:DWORD dst_unused:UNUSED_PAD src0_sel:DWORD src1_sel:WORD_1
	v_mul_f16_sdwa v112, v79, v117 dst_sel:DWORD dst_unused:UNUSED_PAD src0_sel:DWORD src1_sel:WORD_1
	;; [unrolled: 1-line block ×4, first 2 shown]
	v_add_f16_e32 v113, v63, v127
	v_fmac_f16_e32 v110, v79, v117
	v_fma_f16 v79, v109, v117, -v112
	ds_read_u16 v112, v53
	v_fmac_f16_e32 v74, v75, v116
	v_cndmask_b32_e64 v75, 0, 0x384, s0
	v_add_f16_e32 v109, v127, v133
	v_fma_f16 v106, v132, v116, -v106
	v_add_f16_e32 v116, v67, v100
	v_add_f16_e32 v117, v65, v96
	v_add3_u32 v4, 0, v75, v4
	v_add_f16_e32 v75, v5, v6
	v_fmac_f16_e32 v63, -0.5, v109
	v_sub_f16_e32 v109, v5, v6
	v_add_f16_e32 v5, v103, v5
	v_add_f16_e32 v113, v113, v133
	v_fmac_f16_e32 v103, -0.5, v75
	v_sub_f16_e32 v75, v127, v133
	v_fmamk_f16 v114, v109, 0xbaee, v63
	v_fmac_f16_e32 v63, 0x3aee, v109
	v_add_f16_e32 v109, v100, v128
	v_add_f16_e32 v5, v5, v6
	v_fmamk_f16 v6, v75, 0x3aee, v103
	v_fmac_f16_e32 v103, 0xbaee, v75
	v_add_f16_e32 v75, v9, v10
	v_fmac_f16_e32 v67, -0.5, v109
	v_sub_f16_e32 v109, v9, v10
	s_waitcnt lgkmcnt(0)
	v_add_f16_e32 v9, v112, v9
	v_cmp_gt_u32_e64 s0, 45, v33
	v_fmac_f16_e32 v112, -0.5, v75
	v_sub_f16_e32 v75, v100, v128
	v_add_f16_e32 v100, v116, v128
	v_add_f16_e32 v9, v9, v10
	;; [unrolled: 1-line block ×3, first 2 shown]
	v_fmamk_f16 v116, v109, 0xbaee, v67
	v_fmac_f16_e32 v67, 0x3aee, v109
	v_fmamk_f16 v109, v75, 0x3aee, v112
	v_fmac_f16_e32 v112, 0xbaee, v75
	v_add_f16_e32 v75, v95, v93
	v_fmac_f16_e32 v65, -0.5, v10
	v_sub_f16_e32 v10, v95, v93
	v_add_f16_e32 v95, v115, v95
	v_sub_f16_e32 v128, v7, v8
	v_fmac_f16_e32 v115, -0.5, v75
	v_sub_f16_e32 v75, v96, v98
	v_add_f16_e32 v96, v117, v98
	v_fmamk_f16 v98, v10, 0xbaee, v65
	v_fmac_f16_e32 v65, 0x3aee, v10
	v_add_f16_e32 v10, v119, v94
	v_add_f16_e32 v93, v95, v93
	v_fmamk_f16 v95, v75, 0x3aee, v115
	v_fmac_f16_e32 v115, 0xbaee, v75
	v_add_f16_e32 v75, v97, v90
	v_add_f16_e32 v117, v66, v119
	v_fmac_f16_e32 v66, -0.5, v10
	v_sub_f16_e32 v10, v97, v90
	v_add_f16_e32 v97, v123, v97
	v_fmac_f16_e32 v123, -0.5, v75
	v_sub_f16_e32 v75, v119, v94
	v_add_f16_e32 v94, v117, v94
	v_fmamk_f16 v117, v10, 0xbaee, v66
	v_fmac_f16_e32 v66, 0x3aee, v10
	v_add_f16_e32 v10, v105, v91
	v_add_f16_e32 v90, v97, v90
	v_fmamk_f16 v97, v75, 0x3aee, v123
	v_fmac_f16_e32 v123, 0xbaee, v75
	v_add_f16_e32 v75, v64, v105
	v_add_f16_e32 v119, v104, v88
	v_fmac_f16_e32 v64, -0.5, v10
	v_sub_f16_e32 v10, v104, v88
	v_add_f16_e32 v104, v122, v104
	v_add_f16_e32 v75, v75, v91
	v_fmac_f16_e32 v122, -0.5, v119
	v_sub_f16_e32 v91, v105, v91
	v_fmamk_f16 v105, v10, 0xbaee, v64
	v_fmac_f16_e32 v64, 0x3aee, v10
	v_add_f16_e32 v10, v107, v129
	v_add_f16_e32 v88, v104, v88
	v_fmamk_f16 v104, v91, 0x3aee, v122
	v_fmac_f16_e32 v122, 0xbaee, v91
	v_add_f16_e32 v91, v61, v107
	v_fmac_f16_e32 v61, -0.5, v10
	v_add_f16_e32 v10, v7, v8
	v_add_f16_e32 v7, v120, v7
	ds_read_u16 v119, v11
	ds_read_u16 v126, v54
	;; [unrolled: 1-line block ×3, first 2 shown]
	s_waitcnt lgkmcnt(0)
	s_barrier
	v_fmac_f16_e32 v120, -0.5, v10
	v_add_f16_e32 v10, v91, v129
	v_sub_f16_e32 v91, v107, v129
	v_add_f16_e32 v7, v7, v8
	v_add_f16_e32 v8, v121, v81
	v_fmamk_f16 v107, v128, 0xbaee, v61
	v_fmac_f16_e32 v61, 0x3aee, v128
	v_fmamk_f16 v128, v91, 0x3aee, v120
	v_fmac_f16_e32 v120, 0xbaee, v91
	v_add_f16_e32 v91, v77, v108
	v_add_f16_e32 v129, v62, v121
	v_fmac_f16_e32 v62, -0.5, v8
	v_sub_f16_e32 v8, v77, v108
	v_add_f16_e32 v77, v124, v77
	v_fmac_f16_e32 v124, -0.5, v91
	v_add_f16_e32 v91, v129, v81
	v_sub_f16_e32 v81, v121, v81
	v_fmamk_f16 v121, v8, 0xbaee, v62
	v_fmac_f16_e32 v62, 0x3aee, v8
	v_add_f16_e32 v8, v77, v108
	v_add_f16_e32 v77, v118, v125
	v_fmamk_f16 v108, v81, 0x3aee, v124
	v_fmac_f16_e32 v124, 0xbaee, v81
	v_add_f16_e32 v81, v80, v76
	v_add_f16_e32 v129, v58, v118
	v_fmac_f16_e32 v58, -0.5, v77
	v_sub_f16_e32 v77, v80, v76
	v_add_f16_e32 v80, v119, v80
	v_fmac_f16_e32 v119, -0.5, v81
	v_add_f16_e32 v81, v129, v125
	v_sub_f16_e32 v118, v118, v125
	v_fmamk_f16 v125, v77, 0xbaee, v58
	v_fmac_f16_e32 v58, 0x3aee, v77
	v_add_f16_e32 v77, v80, v76
	v_add_f16_e32 v76, v78, v111
	;; [unrolled: 14-line block ×3, first 2 shown]
	v_add_f16_e32 v76, v106, v79
	v_fmamk_f16 v118, v78, 0x3aee, v126
	v_fmac_f16_e32 v126, 0xbaee, v78
	v_add_f16_e32 v78, v60, v74
	v_fmac_f16_e32 v60, -0.5, v73
	v_sub_f16_e32 v73, v106, v79
	v_add_f16_e32 v106, v127, v106
	v_fmac_f16_e32 v127, -0.5, v76
	v_sub_f16_e32 v74, v74, v110
	v_add_f16_e32 v76, v78, v110
	v_fmamk_f16 v78, v73, 0xbaee, v60
	v_fmac_f16_e32 v60, 0x3aee, v73
	v_lshlrev_b32_sdwa v73, v56, v86 dst_sel:DWORD dst_unused:UNUSED_PAD src0_sel:DWORD src1_sel:WORD_0
	v_fmamk_f16 v110, v74, 0x3aee, v127
	v_fmac_f16_e32 v127, 0xbaee, v74
	v_mul_u32_u24_e32 v74, 0x384, v83
	buffer_gl0_inv
	ds_write_b16 v47, v113
	ds_write_b16 v47, v114 offset:300
	ds_write_b16 v47, v63 offset:600
	ds_write_b16 v4, v100
	ds_write_b16 v4, v116 offset:300
	ds_write_b16 v4, v67 offset:600
	v_lshlrev_b32_sdwa v63, v56, v85 dst_sel:DWORD dst_unused:UNUSED_PAD src0_sel:DWORD src1_sel:WORD_0
	v_add3_u32 v113, 0, v74, v73
	v_mul_u32_u24_e32 v67, 0x384, v82
	v_lshlrev_b32_sdwa v73, v56, v87 dst_sel:DWORD dst_unused:UNUSED_PAD src0_sel:DWORD src1_sel:WORD_0
	v_mul_u32_u24_e32 v74, 0x384, v84
	ds_write_b16 v113, v96
	ds_write_b16 v113, v98 offset:300
	ds_write_b16 v113, v65 offset:600
	v_add3_u32 v96, 0, v67, v63
	v_lshlrev_b32_sdwa v63, v56, v92 dst_sel:DWORD dst_unused:UNUSED_PAD src0_sel:DWORD src1_sel:WORD_0
	v_add3_u32 v98, 0, v74, v73
	v_lshlrev_b32_sdwa v65, v56, v99 dst_sel:DWORD dst_unused:UNUSED_PAD src0_sel:DWORD src1_sel:WORD_0
	v_lshlrev_b32_sdwa v67, v56, v101 dst_sel:DWORD dst_unused:UNUSED_PAD src0_sel:DWORD src1_sel:WORD_0
	ds_write_b16 v96, v94
	ds_write_b16 v96, v117 offset:300
	ds_write_b16 v96, v66 offset:600
	v_add3_u32 v92, 0, v68, v63
	v_mul_u32_u24_e32 v63, 0x384, v71
	ds_write_b16 v98, v75
	ds_write_b16 v98, v105 offset:300
	ds_write_b16 v98, v64 offset:600
	ds_write_b16 v92, v10
	v_mul_u32_u24_e32 v10, 0x384, v70
	v_lshlrev_b32_sdwa v73, v56, v102 dst_sel:DWORD dst_unused:UNUSED_PAD src0_sel:DWORD src1_sel:WORD_0
	v_add3_u32 v94, 0, v63, v65
	ds_write_b16 v92, v107 offset:300
	ds_write_b16 v92, v61 offset:600
	v_mul_u32_u24_e32 v61, 0x384, v69
	v_add3_u32 v99, 0, v10, v67
	ds_write_b16 v94, v91
	ds_write_b16 v94, v121 offset:300
	ds_write_b16 v94, v62 offset:600
	ds_write_b16 v99, v81
	ds_write_b16 v99, v125 offset:300
	v_add3_u32 v91, 0, v61, v73
	v_lshl_add_u32 v81, v72, 1, 0
	v_add_f16_e32 v106, v106, v79
	ds_write_b16 v99, v58 offset:600
	ds_write_b16 v91, v80
	ds_write_b16 v91, v111 offset:300
	ds_write_b16 v91, v59 offset:600
	;; [unrolled: 1-line block ×5, first 2 shown]
	s_waitcnt lgkmcnt(0)
	s_barrier
	buffer_gl0_inv
	ds_read_u16 v83, v47 offset:5940
	ds_read_u16 v80, v47 offset:6210
	;; [unrolled: 1-line block ×3, first 2 shown]
	ds_read_u16 v62, v47
	ds_read_u16 v87, v47 offset:2700
	ds_read_u16 v86, v47 offset:2970
	;; [unrolled: 1-line block ×7, first 2 shown]
	ds_read_u16 v60, v51
	ds_read_u16 v10, v11
	;; [unrolled: 1-line block ×3, first 2 shown]
	ds_read_u16 v72, v47 offset:4590
	ds_read_u16 v67, v47 offset:4860
	;; [unrolled: 1-line block ×6, first 2 shown]
	ds_read_u16 v65, v52
	ds_read_u16 v66, v53
	;; [unrolled: 1-line block ×3, first 2 shown]
	ds_read_u16 v111, v47 offset:5670
	ds_read_u16 v114, v47 offset:5400
	ds_read_u16 v69, v47 offset:5130
	ds_read_u16 v63, v50
	ds_read_u16 v64, v49
	;; [unrolled: 1-line block ×3, first 2 shown]
	ds_read_u16 v70, v47 offset:7830
	s_waitcnt lgkmcnt(0)
	s_barrier
	buffer_gl0_inv
	ds_write_b16 v47, v5
	ds_write_b16 v47, v6 offset:300
	ds_write_b16 v47, v103 offset:600
	ds_write_b16 v4, v9
	ds_write_b16 v4, v109 offset:300
	ds_write_b16 v4, v112 offset:600
	;; [unrolled: 3-line block ×9, first 2 shown]
	ds_write_b16 v81, v106 offset:7200
	ds_write_b16 v81, v110 offset:7500
	;; [unrolled: 1-line block ×3, first 2 shown]
	v_subrev_nc_u32_e32 v8, 45, v33
	v_lshlrev_b32_e32 v4, 1, v37
	v_mov_b32_e32 v5, v1
	v_lshlrev_b32_e32 v6, 1, v36
	v_mov_b32_e32 v7, v1
	v_cndmask_b32_e64 v8, v8, v38, s0
	v_mov_b32_e32 v9, v1
	v_lshlrev_b64 v[4:5], 2, v[4:5]
	v_add_nc_u32_e32 v92, 0xb4, v0
	v_lshlrev_b64 v[6:7], 2, v[6:7]
	v_lshlrev_b32_e32 v8, 1, v8
	v_mov_b32_e32 v93, v1
	s_waitcnt lgkmcnt(0)
	v_add_co_u32 v4, s0, s8, v4
	v_lshlrev_b64 v[77:78], 2, v[8:9]
	v_add_co_ci_u32_e64 v5, s0, s9, v5, s0
	v_add_co_u32 v6, s0, s8, v6
	v_add_co_ci_u32_e64 v7, s0, s9, v7, s0
	s_barrier
	buffer_gl0_inv
	global_load_dwordx2 v[88:89], v[2:3], off offset:1760
	v_add_co_u32 v77, s0, s8, v77
	v_lshlrev_b64 v[92:93], 2, v[92:93]
	v_add_co_ci_u32_e64 v78, s0, s9, v78, s0
	global_load_dwordx2 v[90:91], v[4:5], off offset:1760
	v_mov_b32_e32 v81, 0x91a3
	s_clause 0x1
	global_load_dwordx2 v[94:95], v[6:7], off offset:1760
	global_load_dwordx2 v[96:97], v[77:78], off offset:1760
	v_add_co_u32 v77, s0, s8, v92
	v_add_co_ci_u32_e64 v78, s0, s9, v93, s0
	v_add_nc_u32_e32 v92, 0x1c2, v0
	v_mov_b32_e32 v93, v1
	v_mul_u32_u24_sdwa v9, v41, v81 dst_sel:DWORD dst_unused:UNUSED_PAD src0_sel:WORD_0 src1_sel:DWORD
	global_load_dwordx2 v[98:99], v[77:78], off offset:1760
	v_mul_u32_u24_sdwa v100, v42, v81 dst_sel:DWORD dst_unused:UNUSED_PAD src0_sel:WORD_0 src1_sel:DWORD
	v_add_nc_u32_e32 v0, 0, v0
	v_lshlrev_b64 v[77:78], 2, v[92:93]
	v_lshrrev_b32_e32 v9, 24, v9
	v_lshrrev_b32_e32 v92, 24, v100
	v_mul_u32_u24_sdwa v100, v43, v81 dst_sel:DWORD dst_unused:UNUSED_PAD src0_sel:WORD_0 src1_sel:DWORD
	v_mul_u32_u24_sdwa v81, v44, v81 dst_sel:DWORD dst_unused:UNUSED_PAD src0_sel:WORD_0 src1_sel:DWORD
	v_add_co_u32 v77, s0, s8, v77
	v_mul_lo_u16 v93, 0x1c2, v9
	v_add_co_ci_u32_e64 v78, s0, s9, v78, s0
	v_mul_lo_u16 v101, 0x1c2, v92
	v_cmp_lt_u32_e64 s0, 44, v33
	v_sub_nc_u16 v108, v41, v93
	global_load_dwordx2 v[92:93], v[77:78], off offset:1760
	v_lshrrev_b32_e32 v77, 24, v100
	v_sub_nc_u16 v78, v42, v101
	v_lshlrev_b32_sdwa v100, v57, v108 dst_sel:DWORD dst_unused:UNUSED_PAD src0_sel:DWORD src1_sel:WORD_0
	v_lshlrev_b32_sdwa v56, v56, v108 dst_sel:DWORD dst_unused:UNUSED_PAD src0_sel:DWORD src1_sel:WORD_0
	v_mul_lo_u16 v77, 0x1c2, v77
	v_and_b32_e32 v57, 0xffff, v78
	v_lshrrev_b32_e32 v78, 24, v81
	global_load_dwordx2 v[100:101], v100, s[8:9] offset:1760
	v_sub_nc_u16 v77, v43, v77
	v_lshlrev_b32_e32 v81, 3, v57
	v_mul_lo_u16 v78, 0x1c2, v78
	v_and_b32_e32 v77, 0xffff, v77
	global_load_dwordx2 v[102:103], v81, s[8:9] offset:1760
	v_sub_nc_u16 v78, v44, v78
	v_lshlrev_b32_e32 v81, 3, v77
	v_and_b32_e32 v78, 0xffff, v78
	global_load_dwordx2 v[104:105], v81, s[8:9] offset:1760
	v_lshlrev_b32_e32 v81, 3, v78
	global_load_dwordx2 v[106:107], v81, s[8:9] offset:1760
	ds_read_u16 v109, v47 offset:2700
	ds_read_u16 v110, v47 offset:5400
	;; [unrolled: 1-line block ×12, first 2 shown]
	ds_read_u16 v81, v47
	ds_read_u16 v125, v47 offset:5130
	s_waitcnt vmcnt(9) lgkmcnt(13)
	v_mul_f16_sdwa v123, v109, v88 dst_sel:DWORD dst_unused:UNUSED_PAD src0_sel:DWORD src1_sel:WORD_1
	v_mul_f16_sdwa v124, v87, v88 dst_sel:DWORD dst_unused:UNUSED_PAD src0_sel:DWORD src1_sel:WORD_1
	s_waitcnt lgkmcnt(12)
	v_mul_f16_sdwa v126, v110, v89 dst_sel:DWORD dst_unused:UNUSED_PAD src0_sel:DWORD src1_sel:WORD_1
	v_fmac_f16_e32 v123, v87, v88
	v_mul_f16_sdwa v87, v114, v89 dst_sel:DWORD dst_unused:UNUSED_PAD src0_sel:DWORD src1_sel:WORD_1
	v_fma_f16 v88, v109, v88, -v124
	v_fmac_f16_e32 v126, v114, v89
	s_waitcnt vmcnt(8) lgkmcnt(11)
	v_mul_f16_sdwa v109, v112, v90 dst_sel:DWORD dst_unused:UNUSED_PAD src0_sel:DWORD src1_sel:WORD_1
	v_mul_f16_sdwa v114, v86, v90 dst_sel:DWORD dst_unused:UNUSED_PAD src0_sel:DWORD src1_sel:WORD_1
	v_fma_f16 v87, v110, v89, -v87
	s_waitcnt lgkmcnt(10)
	v_mul_f16_sdwa v89, v113, v91 dst_sel:DWORD dst_unused:UNUSED_PAD src0_sel:DWORD src1_sel:WORD_1
	v_mul_f16_sdwa v110, v111, v91 dst_sel:DWORD dst_unused:UNUSED_PAD src0_sel:DWORD src1_sel:WORD_1
	v_fmac_f16_e32 v109, v86, v90
	v_fma_f16 v86, v112, v90, -v114
	ds_read_u16 v114, v47 offset:6750
	s_waitcnt vmcnt(7) lgkmcnt(7)
	v_mul_f16_sdwa v90, v118, v94 dst_sel:DWORD dst_unused:UNUSED_PAD src0_sel:DWORD src1_sel:WORD_1
	v_fmac_f16_e32 v89, v111, v91
	v_fma_f16 v91, v113, v91, -v110
	v_mul_f16_sdwa v110, v85, v94 dst_sel:DWORD dst_unused:UNUSED_PAD src0_sel:DWORD src1_sel:WORD_1
	v_mul_f16_sdwa v111, v115, v95 dst_sel:DWORD dst_unused:UNUSED_PAD src0_sel:DWORD src1_sel:WORD_1
	v_fmac_f16_e32 v90, v85, v94
	v_mul_f16_sdwa v85, v83, v95 dst_sel:DWORD dst_unused:UNUSED_PAD src0_sel:DWORD src1_sel:WORD_1
	s_waitcnt vmcnt(6) lgkmcnt(6)
	v_mul_f16_sdwa v112, v119, v96 dst_sel:DWORD dst_unused:UNUSED_PAD src0_sel:DWORD src1_sel:WORD_1
	v_fma_f16 v94, v118, v94, -v110
	v_fmac_f16_e32 v111, v83, v95
	v_mul_f16_sdwa v83, v84, v96 dst_sel:DWORD dst_unused:UNUSED_PAD src0_sel:DWORD src1_sel:WORD_1
	v_fma_f16 v85, v115, v95, -v85
	v_fmac_f16_e32 v112, v84, v96
	v_mul_f16_sdwa v84, v116, v97 dst_sel:DWORD dst_unused:UNUSED_PAD src0_sel:DWORD src1_sel:WORD_1
	v_mul_f16_sdwa v95, v80, v97 dst_sel:DWORD dst_unused:UNUSED_PAD src0_sel:DWORD src1_sel:WORD_1
	s_waitcnt vmcnt(5) lgkmcnt(5)
	v_mul_f16_sdwa v110, v120, v98 dst_sel:DWORD dst_unused:UNUSED_PAD src0_sel:DWORD src1_sel:WORD_1
	v_mul_f16_sdwa v113, v82, v98 dst_sel:DWORD dst_unused:UNUSED_PAD src0_sel:DWORD src1_sel:WORD_1
	v_fma_f16 v83, v119, v96, -v83
	v_fmac_f16_e32 v84, v80, v97
	v_fma_f16 v80, v116, v97, -v95
	v_mul_f16_sdwa v95, v117, v99 dst_sel:DWORD dst_unused:UNUSED_PAD src0_sel:DWORD src1_sel:WORD_1
	ds_read_u16 v97, v47 offset:4590
	v_fmac_f16_e32 v110, v82, v98
	v_fma_f16 v82, v120, v98, -v113
	v_mul_f16_sdwa v96, v79, v99 dst_sel:DWORD dst_unused:UNUSED_PAD src0_sel:DWORD src1_sel:WORD_1
	v_fmac_f16_e32 v95, v79, v99
	ds_read_u16 v79, v47 offset:7020
	ds_read_u16 v98, v47 offset:7290
	;; [unrolled: 1-line block ×4, first 2 shown]
	s_waitcnt vmcnt(4) lgkmcnt(5)
	v_mul_f16_sdwa v120, v114, v93 dst_sel:DWORD dst_unused:UNUSED_PAD src0_sel:DWORD src1_sel:WORD_1
	v_mul_f16_sdwa v127, v76, v93 dst_sel:DWORD dst_unused:UNUSED_PAD src0_sel:DWORD src1_sel:WORD_1
	v_fma_f16 v96, v117, v99, -v96
	v_mul_f16_sdwa v99, v121, v92 dst_sel:DWORD dst_unused:UNUSED_PAD src0_sel:DWORD src1_sel:WORD_1
	v_mul_f16_sdwa v116, v74, v92 dst_sel:DWORD dst_unused:UNUSED_PAD src0_sel:DWORD src1_sel:WORD_1
	ds_read_u16 v117, v50
	ds_read_u16 v118, v49
	;; [unrolled: 1-line block ×3, first 2 shown]
	ds_read_u16 v124, v47 offset:4860
	v_fmac_f16_e32 v120, v76, v93
	v_fmac_f16_e32 v99, v74, v92
	s_waitcnt vmcnt(3)
	v_mul_f16_sdwa v74, v122, v100 dst_sel:DWORD dst_unused:UNUSED_PAD src0_sel:DWORD src1_sel:WORD_1
	v_fma_f16 v76, v114, v93, -v127
	v_mul_f16_sdwa v93, v73, v100 dst_sel:DWORD dst_unused:UNUSED_PAD src0_sel:DWORD src1_sel:WORD_1
	v_fma_f16 v92, v121, v92, -v116
	v_mul_f16_sdwa v114, v75, v101 dst_sel:DWORD dst_unused:UNUSED_PAD src0_sel:DWORD src1_sel:WORD_1
	v_fmac_f16_e32 v74, v73, v100
	s_waitcnt vmcnt(2) lgkmcnt(8)
	v_mul_f16_sdwa v116, v97, v102 dst_sel:DWORD dst_unused:UNUSED_PAD src0_sel:DWORD src1_sel:WORD_1
	s_waitcnt lgkmcnt(7)
	v_mul_f16_sdwa v73, v79, v101 dst_sel:DWORD dst_unused:UNUSED_PAD src0_sel:DWORD src1_sel:WORD_1
	v_fma_f16 v93, v122, v100, -v93
	v_mul_f16_sdwa v100, v72, v102 dst_sel:DWORD dst_unused:UNUSED_PAD src0_sel:DWORD src1_sel:WORD_1
	v_add_f16_e32 v108, v66, v109
	v_fmac_f16_e32 v116, v72, v102
	v_fmac_f16_e32 v73, v75, v101
	v_fma_f16 v75, v79, v101, -v114
	v_fma_f16 v79, v97, v102, -v100
	s_waitcnt vmcnt(1) lgkmcnt(5)
	v_mul_f16_sdwa v102, v113, v105 dst_sel:DWORD dst_unused:UNUSED_PAD src0_sel:DWORD src1_sel:WORD_1
	v_mul_f16_sdwa v72, v98, v103 dst_sel:DWORD dst_unused:UNUSED_PAD src0_sel:DWORD src1_sel:WORD_1
	;; [unrolled: 1-line block ×4, first 2 shown]
	v_sub_f16_e32 v121, v92, v76
	v_fmac_f16_e32 v102, v68, v105
	v_mul_f16_sdwa v68, v68, v105 dst_sel:DWORD dst_unused:UNUSED_PAD src0_sel:DWORD src1_sel:WORD_1
	v_fmac_f16_e32 v72, v71, v103
	v_fma_f16 v71, v98, v103, -v97
	s_waitcnt vmcnt(0)
	v_mul_f16_sdwa v97, v125, v106 dst_sel:DWORD dst_unused:UNUSED_PAD src0_sel:DWORD src1_sel:WORD_1
	v_mul_f16_sdwa v98, v69, v106 dst_sel:DWORD dst_unused:UNUSED_PAD src0_sel:DWORD src1_sel:WORD_1
	v_fma_f16 v68, v113, v105, -v68
	ds_read_u16 v113, v51
	s_waitcnt lgkmcnt(1)
	v_mul_f16_sdwa v100, v124, v104 dst_sel:DWORD dst_unused:UNUSED_PAD src0_sel:DWORD src1_sel:WORD_1
	v_mul_f16_sdwa v103, v70, v107 dst_sel:DWORD dst_unused:UNUSED_PAD src0_sel:DWORD src1_sel:WORD_1
	v_fmac_f16_e32 v97, v69, v106
	v_fma_f16 v69, v125, v106, -v98
	v_add_f16_e32 v98, v123, v126
	v_fmac_f16_e32 v100, v67, v104
	v_fma_f16 v67, v124, v104, -v101
	v_mul_f16_sdwa v101, v115, v107 dst_sel:DWORD dst_unused:UNUSED_PAD src0_sel:DWORD src1_sel:WORD_1
	ds_read_u16 v104, v53
	v_add_f16_e32 v105, v88, v87
	v_fmac_f16_e32 v101, v70, v107
	v_fma_f16 v70, v115, v107, -v103
	ds_read_u16 v107, v52
	v_add_f16_e32 v103, v62, v123
	v_fmac_f16_e32 v62, -0.5, v98
	v_sub_f16_e32 v98, v88, v87
	v_add_f16_e32 v88, v81, v88
	v_fmac_f16_e32 v81, -0.5, v105
	v_sub_f16_e32 v105, v123, v126
	v_add_f16_e32 v103, v103, v126
	v_fmamk_f16 v106, v98, 0xbaee, v62
	v_add_f16_e32 v87, v88, v87
	v_add_f16_e32 v88, v109, v89
	v_fmac_f16_e32 v62, 0x3aee, v98
	v_fmamk_f16 v98, v105, 0x3aee, v81
	v_fmac_f16_e32 v81, 0xbaee, v105
	v_add_f16_e32 v105, v86, v91
	v_fmac_f16_e32 v66, -0.5, v88
	v_sub_f16_e32 v88, v86, v91
	s_waitcnt lgkmcnt(1)
	v_add_f16_e32 v86, v104, v86
	v_fmac_f16_e32 v104, -0.5, v105
	v_add_f16_e32 v105, v108, v89
	v_sub_f16_e32 v89, v109, v89
	v_fmamk_f16 v108, v88, 0xbaee, v66
	v_fmac_f16_e32 v66, 0x3aee, v88
	v_add_f16_e32 v88, v90, v111
	v_add_f16_e32 v86, v86, v91
	v_fmamk_f16 v91, v89, 0x3aee, v104
	v_fmac_f16_e32 v104, 0xbaee, v89
	v_add_f16_e32 v89, v94, v85
	v_add_f16_e32 v109, v65, v90
	v_fmac_f16_e32 v65, -0.5, v88
	v_sub_f16_e32 v88, v94, v85
	s_waitcnt lgkmcnt(0)
	v_add_f16_e32 v94, v107, v94
	v_fmac_f16_e32 v107, -0.5, v89
	v_add_f16_e32 v89, v109, v111
	v_sub_f16_e32 v90, v90, v111
	v_fmamk_f16 v109, v88, 0xbaee, v65
	v_fmac_f16_e32 v65, 0x3aee, v88
	v_add_f16_e32 v88, v112, v84
	v_add_f16_e32 v85, v94, v85
	v_fmamk_f16 v94, v90, 0x3aee, v107
	v_fmac_f16_e32 v107, 0xbaee, v90
	v_add_f16_e32 v90, v83, v80
	v_add_f16_e32 v111, v64, v112
	v_fmac_f16_e32 v64, -0.5, v88
	v_sub_f16_e32 v88, v83, v80
	v_add_f16_e32 v83, v118, v83
	v_fmac_f16_e32 v118, -0.5, v90
	v_sub_f16_e32 v90, v112, v84
	v_add_f16_e32 v84, v111, v84
	v_fmamk_f16 v111, v88, 0xbaee, v64
	v_fmac_f16_e32 v64, 0x3aee, v88
	v_add_f16_e32 v88, v83, v80
	v_add_f16_e32 v80, v110, v95
	v_fmamk_f16 v112, v90, 0x3aee, v118
	v_fmac_f16_e32 v118, 0xbaee, v90
	v_add_f16_e32 v83, v63, v110
	v_add_f16_e32 v90, v82, v96
	v_fmac_f16_e32 v63, -0.5, v80
	v_sub_f16_e32 v80, v82, v96
	v_add_f16_e32 v82, v117, v82
	v_add_f16_e32 v83, v83, v95
	v_fmac_f16_e32 v117, -0.5, v90
	v_sub_f16_e32 v90, v110, v95
	v_fmamk_f16 v95, v80, 0xbaee, v63
	v_fmac_f16_e32 v63, 0x3aee, v80
	v_add_f16_e32 v80, v99, v120
	v_add_f16_e32 v96, v82, v96
	;; [unrolled: 1-line block ×3, first 2 shown]
	v_fmamk_f16 v110, v90, 0x3aee, v117
	v_fmac_f16_e32 v117, 0xbaee, v90
	v_fmac_f16_e32 v60, -0.5, v80
	v_add_f16_e32 v80, v92, v76
	v_add_f16_e32 v92, v113, v92
	ds_read_u16 v90, v11
	ds_read_u16 v114, v54
	ds_read_u16 v115, v55
	s_waitcnt lgkmcnt(0)
	s_barrier
	v_fmac_f16_e32 v113, -0.5, v80
	v_add_f16_e32 v80, v82, v120
	v_sub_f16_e32 v82, v99, v120
	v_add_f16_e32 v92, v92, v76
	v_add_f16_e32 v76, v74, v73
	v_fmamk_f16 v99, v121, 0xbaee, v60
	v_fmac_f16_e32 v60, 0x3aee, v121
	v_fmamk_f16 v120, v82, 0x3aee, v113
	v_fmac_f16_e32 v113, 0xbaee, v82
	v_add_f16_e32 v82, v93, v75
	v_add_f16_e32 v121, v61, v74
	v_fmac_f16_e32 v61, -0.5, v76
	v_sub_f16_e32 v76, v93, v75
	v_add_f16_e32 v93, v119, v93
	v_fmac_f16_e32 v119, -0.5, v82
	v_add_f16_e32 v82, v121, v73
	v_sub_f16_e32 v73, v74, v73
	v_fmamk_f16 v74, v76, 0xbaee, v61
	v_add_f16_e32 v93, v93, v75
	v_add_f16_e32 v75, v116, v72
	v_fmac_f16_e32 v61, 0x3aee, v76
	v_fmamk_f16 v121, v73, 0x3aee, v119
	v_fmac_f16_e32 v119, 0xbaee, v73
	v_add_f16_e32 v73, v79, v71
	v_add_f16_e32 v76, v10, v116
	v_fmac_f16_e32 v10, -0.5, v75
	v_sub_f16_e32 v75, v79, v71
	v_add_f16_e32 v79, v90, v79
	v_fmac_f16_e32 v90, -0.5, v73
	v_add_f16_e32 v73, v76, v72
	v_sub_f16_e32 v72, v116, v72
	v_fmamk_f16 v76, v75, 0xbaee, v10
	v_add_f16_e32 v116, v79, v71
	v_add_f16_e32 v71, v100, v102
	;; [unrolled: 14-line block ×3, first 2 shown]
	v_fmac_f16_e32 v58, 0x3aee, v71
	v_add_f16_e32 v71, v59, v97
	v_fmamk_f16 v102, v75, 0x3aee, v114
	v_fmac_f16_e32 v114, 0xbaee, v75
	v_fmac_f16_e32 v59, -0.5, v67
	v_sub_f16_e32 v67, v69, v70
	v_add_f16_e32 v68, v69, v70
	buffer_gl0_inv
	ds_write_b16 v47, v103
	ds_write_b16 v47, v106 offset:900
	v_add_f16_e32 v69, v115, v69
	v_fmamk_f16 v75, v67, 0xbaee, v59
	v_fmac_f16_e32 v59, 0x3aee, v67
	v_cndmask_b32_e64 v67, 0, 0xa8c, s0
	v_fmac_f16_e32 v115, -0.5, v68
	v_sub_f16_e32 v68, v97, v101
	ds_write_b16 v47, v62 offset:1800
	ds_write_b16 v53, v105
	ds_write_b16 v53, v108 offset:900
	ds_write_b16 v53, v66 offset:1800
	ds_write_b16 v52, v89
	ds_write_b16 v52, v109 offset:900
	ds_write_b16 v52, v65 offset:1800
	v_add3_u32 v103, 0, v67, v8
	v_mul_u32_u24_e32 v8, 0xa8c, v9
	ds_write_b16 v103, v84
	ds_write_b16 v103, v111 offset:900
	v_add3_u32 v84, 0, v8, v56
	v_lshl_add_u32 v89, v57, 1, 0
	ds_write_b16 v103, v64 offset:1800
	ds_write_b16 v0, v83 offset:2880
	;; [unrolled: 1-line block ×4, first 2 shown]
	v_lshl_add_u32 v95, v77, 1, 0
	v_add_f16_e32 v71, v71, v101
	ds_write_b16 v0, v80 offset:3150
	ds_write_b16 v0, v99 offset:4050
	;; [unrolled: 1-line block ×3, first 2 shown]
	v_lshl_add_u32 v99, v78, 1, 0
	v_add_f16_e32 v97, v69, v70
	v_fmamk_f16 v101, v68, 0x3aee, v115
	v_fmac_f16_e32 v115, 0xbaee, v68
	ds_write_b16 v84, v82
	ds_write_b16 v84, v74 offset:900
	ds_write_b16 v84, v61 offset:1800
	;; [unrolled: 1-line block ×11, first 2 shown]
	s_waitcnt lgkmcnt(0)
	s_barrier
	buffer_gl0_inv
	ds_read_u16 v78, v47 offset:5940
	ds_read_u16 v8, v47 offset:6210
	;; [unrolled: 1-line block ×3, first 2 shown]
	ds_read_u16 v72, v47
	ds_read_u16 v76, v47 offset:2700
	ds_read_u16 v79, v47 offset:2970
	;; [unrolled: 1-line block ×7, first 2 shown]
	ds_read_u16 v58, v51
	ds_read_u16 v63, v11
	;; [unrolled: 1-line block ×3, first 2 shown]
	ds_read_u16 v67, v47 offset:4590
	ds_read_u16 v70, v47 offset:4860
	;; [unrolled: 1-line block ×6, first 2 shown]
	ds_read_u16 v77, v52
	ds_read_u16 v75, v53
	;; [unrolled: 1-line block ×3, first 2 shown]
	ds_read_u16 v83, v47 offset:5670
	ds_read_u16 v82, v47 offset:5400
	;; [unrolled: 1-line block ×3, first 2 shown]
	ds_read_u16 v57, v50
	ds_read_u16 v10, v49
	ds_read_u16 v62, v48
	ds_read_u16 v74, v47 offset:7830
	s_waitcnt lgkmcnt(0)
	s_barrier
	buffer_gl0_inv
	ds_write_b16 v47, v87
	ds_write_b16 v47, v98 offset:900
	ds_write_b16 v47, v81 offset:1800
	ds_write_b16 v53, v86
	ds_write_b16 v53, v91 offset:900
	ds_write_b16 v53, v104 offset:1800
	;; [unrolled: 3-line block ×4, first 2 shown]
	ds_write_b16 v0, v96 offset:2880
	ds_write_b16 v0, v110 offset:3780
	;; [unrolled: 1-line block ×6, first 2 shown]
	ds_write_b16 v84, v93
	ds_write_b16 v84, v121 offset:900
	ds_write_b16 v84, v119 offset:1800
	;; [unrolled: 1-line block ×11, first 2 shown]
	s_waitcnt lgkmcnt(0)
	s_barrier
	buffer_gl0_inv
	s_and_saveexec_b32 s0, vcc_lo
	s_cbranch_execz .LBB0_15
; %bb.14:
	v_lshlrev_b32_e32 v0, 1, v44
	v_add_co_u32 v6, vcc_lo, 0x1000, v6
	v_add_co_ci_u32_e32 v7, vcc_lo, 0, v7, vcc_lo
	v_add_co_u32 v4, vcc_lo, 0x1000, v4
	v_lshlrev_b64 v[52:53], 2, v[0:1]
	v_add_co_ci_u32_e32 v5, vcc_lo, 0, v5, vcc_lo
	v_add_co_u32 v2, vcc_lo, 0x1000, v2
	v_add_co_ci_u32_e32 v3, vcc_lo, 0, v3, vcc_lo
	v_add_co_u32 v0, vcc_lo, s8, v52
	v_add_co_ci_u32_e32 v44, vcc_lo, s9, v53, vcc_lo
	global_load_dwordx2 v[6:7], v[6:7], off offset:1264
	v_add_co_u32 v52, vcc_lo, 0x1000, v0
	v_add_co_ci_u32_e32 v53, vcc_lo, 0, v44, vcc_lo
	v_lshlrev_b32_e32 v0, 1, v43
	s_clause 0x1
	global_load_dwordx2 v[4:5], v[4:5], off offset:1264
	global_load_dwordx2 v[2:3], v[2:3], off offset:1264
	v_mad_u64_u32 v[90:91], null, s2, v31, 0
	global_load_dwordx2 v[43:44], v[52:53], off offset:1264
	v_lshlrev_b64 v[52:53], 2, v[0:1]
	v_lshlrev_b32_e32 v0, 1, v42
	v_add_co_u32 v52, vcc_lo, s8, v52
	v_add_co_ci_u32_e32 v53, vcc_lo, s9, v53, vcc_lo
	v_lshlrev_b64 v[84:85], 2, v[0:1]
	v_add_co_u32 v52, vcc_lo, 0x1000, v52
	v_lshlrev_b32_e32 v0, 1, v41
	v_add_co_ci_u32_e32 v53, vcc_lo, 0, v53, vcc_lo
	v_add_co_u32 v42, vcc_lo, s8, v84
	v_add_co_ci_u32_e32 v81, vcc_lo, s9, v85, vcc_lo
	v_lshlrev_b64 v[84:85], 2, v[0:1]
	v_add_co_u32 v41, vcc_lo, 0x1000, v42
	v_add_co_ci_u32_e32 v42, vcc_lo, 0, v81, vcc_lo
	global_load_dwordx2 v[52:53], v[52:53], off offset:1264
	v_add_co_u32 v0, vcc_lo, s8, v84
	v_add_co_ci_u32_e32 v81, vcc_lo, s9, v85, vcc_lo
	v_add_co_u32 v84, vcc_lo, 0x1000, v0
	v_lshlrev_b32_e32 v0, 1, v40
	v_add_co_ci_u32_e32 v85, vcc_lo, 0, v81, vcc_lo
	v_lshlrev_b64 v[86:87], 2, v[0:1]
	s_clause 0x1
	global_load_dwordx2 v[84:85], v[84:85], off offset:1264
	global_load_dwordx2 v[41:42], v[41:42], off offset:1264
	v_add_co_u32 v0, vcc_lo, s8, v86
	v_add_co_ci_u32_e32 v40, vcc_lo, s9, v87, vcc_lo
	v_add_co_u32 v86, vcc_lo, 0x1000, v0
	v_add_co_ci_u32_e32 v87, vcc_lo, 0, v40, vcc_lo
	v_lshlrev_b32_e32 v0, 1, v39
	global_load_dwordx2 v[39:40], v[86:87], off offset:1264
	v_lshlrev_b64 v[86:87], 2, v[0:1]
	v_add_co_u32 v0, vcc_lo, s8, v86
	v_add_co_ci_u32_e32 v81, vcc_lo, s9, v87, vcc_lo
	v_add_co_u32 v86, vcc_lo, 0x1000, v0
	v_lshlrev_b32_e32 v0, 1, v38
	v_add_co_ci_u32_e32 v87, vcc_lo, 0, v81, vcc_lo
	v_mul_i32_i24_e32 v38, 0xffffffee, v37
	v_mul_i32_i24_e32 v81, 0xffffffee, v36
	v_lshlrev_b64 v[0:1], 2, v[0:1]
	global_load_dwordx2 v[86:87], v[86:87], off offset:1264
	v_mad_u64_u32 v[36:37], null, s2, v33, 0
	v_add_nc_u32_e32 v46, v46, v81
	v_add_co_u32 v0, vcc_lo, s8, v0
	v_add_co_ci_u32_e32 v1, vcc_lo, s9, v1, vcc_lo
	v_add_co_u32 v0, vcc_lo, 0x1000, v0
	v_add_co_ci_u32_e32 v1, vcc_lo, 0, v1, vcc_lo
	global_load_dwordx2 v[88:89], v[0:1], off offset:1264
	ds_read_u16 v92, v47 offset:6480
	ds_read_u16 v93, v47 offset:6210
	;; [unrolled: 1-line block ×8, first 2 shown]
	ds_read_u16 v100, v48
	ds_read_u16 v101, v55
	;; [unrolled: 1-line block ×7, first 2 shown]
	ds_read_u16 v107, v47 offset:7830
	ds_read_u16 v108, v47 offset:7560
	;; [unrolled: 1-line block ×5, first 2 shown]
	ds_read_u16 v112, v47
	ds_read_u16 v113, v47 offset:4320
	ds_read_u16 v114, v47 offset:4050
	;; [unrolled: 1-line block ×7, first 2 shown]
	v_mad_u64_u32 v[47:48], null, s2, v34, 0
	v_mad_u64_u32 v[49:50], null, s2, v35, 0
	;; [unrolled: 1-line block ×3, first 2 shown]
	v_add_co_u32 v0, vcc_lo, s12, v12
	v_mov_b32_e32 v11, v37
	v_mov_b32_e32 v12, v48
	v_add_co_ci_u32_e32 v1, vcc_lo, s13, v13, vcc_lo
	v_mov_b32_e32 v13, v50
	v_mov_b32_e32 v37, v55
	v_mad_u64_u32 v[50:51], null, s3, v33, v[11:12]
	v_mad_u64_u32 v[11:12], null, s3, v34, v[12:13]
	;; [unrolled: 1-line block ×4, first 2 shown]
	v_mov_b32_e32 v37, v50
	v_add_nc_u32_e32 v13, v45, v38
	v_mov_b32_e32 v48, v11
	ds_read_u16 v34, v46
	v_mov_b32_e32 v50, v12
	v_lshlrev_b64 v[11:12], 2, v[36:37]
	ds_read_u16 v13, v13
	v_mov_b32_e32 v55, v32
	v_lshlrev_b64 v[32:33], 2, v[47:48]
	v_mov_b32_e32 v35, v91
	v_lshlrev_b64 v[36:37], 2, v[49:50]
	v_add_co_u32 v11, vcc_lo, v0, v11
	v_add_co_ci_u32_e32 v12, vcc_lo, v1, v12, vcc_lo
	v_add_co_u32 v45, vcc_lo, v0, v32
	v_add_co_ci_u32_e32 v46, vcc_lo, v1, v33, vcc_lo
	;; [unrolled: 2-line block ×3, first 2 shown]
	s_waitcnt vmcnt(9)
	v_mul_f16_sdwa v32, v80, v6 dst_sel:DWORD dst_unused:UNUSED_PAD src0_sel:DWORD src1_sel:WORD_1
	v_mul_f16_sdwa v33, v78, v7 dst_sel:DWORD dst_unused:UNUSED_PAD src0_sel:DWORD src1_sel:WORD_1
	s_waitcnt lgkmcnt(4)
	v_mul_f16_sdwa v38, v117, v6 dst_sel:DWORD dst_unused:UNUSED_PAD src0_sel:DWORD src1_sel:WORD_1
	v_mul_f16_sdwa v47, v94, v7 dst_sel:DWORD dst_unused:UNUSED_PAD src0_sel:DWORD src1_sel:WORD_1
	s_waitcnt vmcnt(8)
	v_mul_f16_sdwa v48, v79, v4 dst_sel:DWORD dst_unused:UNUSED_PAD src0_sel:DWORD src1_sel:WORD_1
	v_mul_f16_sdwa v49, v83, v5 dst_sel:DWORD dst_unused:UNUSED_PAD src0_sel:DWORD src1_sel:WORD_1
	s_waitcnt lgkmcnt(3)
	v_mul_f16_sdwa v50, v118, v4 dst_sel:DWORD dst_unused:UNUSED_PAD src0_sel:DWORD src1_sel:WORD_1
	v_mul_f16_sdwa v51, v95, v5 dst_sel:DWORD dst_unused:UNUSED_PAD src0_sel:DWORD src1_sel:WORD_1
	;; [unrolled: 6-line block ×3, first 2 shown]
	v_fma_f16 v32, v6, v117, -v32
	v_fma_f16 v33, v7, v94, -v33
	v_fmac_f16_e32 v38, v80, v6
	v_fmac_f16_e32 v47, v78, v7
	v_fma_f16 v6, v4, v118, -v48
	v_fma_f16 v7, v5, v95, -v49
	v_fmac_f16_e32 v50, v79, v4
	v_fmac_f16_e32 v51, v83, v5
	;; [unrolled: 4-line block ×3, first 2 shown]
	v_add_f16_e32 v2, v32, v33
	v_sub_f16_e32 v3, v38, v47
	s_waitcnt lgkmcnt(1)
	v_add_f16_e32 v48, v34, v32
	v_add_f16_e32 v49, v38, v47
	;; [unrolled: 1-line block ×4, first 2 shown]
	v_sub_f16_e32 v78, v50, v51
	s_waitcnt lgkmcnt(0)
	v_add_f16_e32 v79, v13, v6
	v_add_f16_e32 v80, v50, v51
	;; [unrolled: 1-line block ×7, first 2 shown]
	v_sub_f16_e32 v32, v32, v33
	v_sub_f16_e32 v6, v6, v7
	;; [unrolled: 1-line block ×4, first 2 shown]
	v_fma_f16 v95, -0.5, v2, v34
	v_add_f16_e32 v48, v48, v33
	v_fma_f16 v49, -0.5, v49, v77
	v_add_f16_e32 v47, v38, v47
	;; [unrolled: 2-line block ×6, first 2 shown]
	s_waitcnt vmcnt(6)
	v_mul_f16_sdwa v33, v73, v43 dst_sel:DWORD dst_unused:UNUSED_PAD src0_sel:DWORD src1_sel:WORD_1
	v_mul_f16_sdwa v34, v74, v44 dst_sel:DWORD dst_unused:UNUSED_PAD src0_sel:DWORD src1_sel:WORD_1
	;; [unrolled: 1-line block ×4, first 2 shown]
	v_fmamk_f16 v72, v3, 0xbaee, v95
	v_fmac_f16_e32 v95, 0x3aee, v3
	v_fmamk_f16 v79, v32, 0x3aee, v49
	v_fmac_f16_e32 v49, 0xbaee, v32
	;; [unrolled: 2-line block ×6, first 2 shown]
	v_pack_b32_f16 v3, v13, v5
	v_fma_f16 v4, v43, v97, -v33
	v_fma_f16 v5, v44, v107, -v34
	v_fmac_f16_e32 v38, v73, v43
	v_fmac_f16_e32 v51, v74, v44
	s_waitcnt vmcnt(5)
	v_mul_f16_sdwa v6, v70, v52 dst_sel:DWORD dst_unused:UNUSED_PAD src0_sel:DWORD src1_sel:WORD_1
	v_mul_f16_sdwa v13, v71, v53 dst_sel:DWORD dst_unused:UNUSED_PAD src0_sel:DWORD src1_sel:WORD_1
	;; [unrolled: 1-line block ×4, first 2 shown]
	global_store_dword v[11:12], v3, off
	v_pack_b32_f16 v43, v7, v2
	v_add_f16_e32 v2, v4, v5
	v_sub_f16_e32 v7, v38, v51
	v_add_f16_e32 v3, v101, v4
	v_add_f16_e32 v11, v38, v51
	;; [unrolled: 1-line block ×3, first 2 shown]
	v_fma_f16 v6, v52, v98, -v6
	v_fma_f16 v13, v53, v108, -v13
	v_fmac_f16_e32 v32, v70, v52
	v_fmac_f16_e32 v34, v71, v53
	s_waitcnt vmcnt(3)
	v_mul_f16_sdwa v38, v67, v41 dst_sel:DWORD dst_unused:UNUSED_PAD src0_sel:DWORD src1_sel:WORD_1
	v_mul_f16_sdwa v44, v68, v42 dst_sel:DWORD dst_unused:UNUSED_PAD src0_sel:DWORD src1_sel:WORD_1
	;; [unrolled: 1-line block ×4, first 2 shown]
	v_sub_f16_e32 v12, v4, v5
	v_fma_f16 v2, -0.5, v2, v101
	v_add_f16_e32 v4, v3, v5
	v_fma_f16 v3, -0.5, v11, v69
	v_add_f16_e32 v11, v6, v13
	v_add_f16_e32 v69, v32, v34
	v_fma_f16 v38, v41, v99, -v38
	v_fma_f16 v44, v42, v109, -v44
	v_fmac_f16_e32 v52, v67, v41
	v_fmac_f16_e32 v53, v68, v42
	v_mul_f16_sdwa v41, v64, v84 dst_sel:DWORD dst_unused:UNUSED_PAD src0_sel:DWORD src1_sel:WORD_1
	v_mul_f16_sdwa v42, v65, v85 dst_sel:DWORD dst_unused:UNUSED_PAD src0_sel:DWORD src1_sel:WORD_1
	;; [unrolled: 1-line block ×4, first 2 shown]
	s_waitcnt vmcnt(2)
	v_mul_f16_sdwa v74, v114, v39 dst_sel:DWORD dst_unused:UNUSED_PAD src0_sel:DWORD src1_sel:WORD_1
	v_mul_f16_sdwa v83, v111, v40 dst_sel:DWORD dst_unused:UNUSED_PAD src0_sel:DWORD src1_sel:WORD_1
	v_add_f16_e32 v5, v33, v51
	v_sub_f16_e32 v51, v32, v34
	v_add_f16_e32 v33, v102, v6
	v_sub_f16_e32 v70, v6, v13
	v_add_f16_e32 v32, v66, v32
	v_fmamk_f16 v6, v7, 0xbaee, v2
	v_fmac_f16_e32 v2, 0x3aee, v7
	v_fmamk_f16 v7, v12, 0x3aee, v3
	v_fmac_f16_e32 v3, 0xbaee, v12
	v_fma_f16 v11, -0.5, v11, v102
	v_fma_f16 v12, -0.5, v69, v66
	v_add_f16_e32 v66, v38, v44
	v_sub_f16_e32 v69, v52, v53
	v_add_f16_e32 v71, v103, v38
	v_add_f16_e32 v73, v52, v53
	;; [unrolled: 1-line block ×3, first 2 shown]
	v_fma_f16 v41, v84, v113, -v41
	v_fma_f16 v42, v85, v110, -v42
	v_fmac_f16_e32 v67, v64, v84
	v_fmac_f16_e32 v68, v65, v85
	v_mul_f16_sdwa v64, v60, v39 dst_sel:DWORD dst_unused:UNUSED_PAD src0_sel:DWORD src1_sel:WORD_1
	v_mul_f16_sdwa v65, v61, v40 dst_sel:DWORD dst_unused:UNUSED_PAD src0_sel:DWORD src1_sel:WORD_1
	v_fmac_f16_e32 v74, v60, v39
	v_fmac_f16_e32 v83, v61, v40
	s_waitcnt vmcnt(1)
	v_mul_f16_sdwa v60, v115, v86 dst_sel:DWORD dst_unused:UNUSED_PAD src0_sel:DWORD src1_sel:WORD_1
	v_mul_f16_sdwa v61, v92, v87 dst_sel:DWORD dst_unused:UNUSED_PAD src0_sel:DWORD src1_sel:WORD_1
	v_add_f16_e32 v33, v33, v13
	v_add_f16_e32 v34, v32, v34
	v_sub_f16_e32 v38, v38, v44
	v_fmamk_f16 v13, v51, 0xbaee, v11
	v_fmac_f16_e32 v11, 0x3aee, v51
	v_fmamk_f16 v32, v70, 0x3aee, v12
	v_fmac_f16_e32 v12, 0xbaee, v70
	v_fma_f16 v51, -0.5, v66, v103
	v_add_f16_e32 v66, v71, v44
	v_add_f16_e32 v52, v52, v53
	v_add_f16_e32 v44, v41, v42
	v_sub_f16_e32 v53, v67, v68
	v_add_f16_e32 v70, v100, v41
	v_add_f16_e32 v71, v67, v68
	;; [unrolled: 1-line block ×3, first 2 shown]
	v_fma_f16 v64, v39, v114, -v64
	v_mul_f16_sdwa v39, v59, v86 dst_sel:DWORD dst_unused:UNUSED_PAD src0_sel:DWORD src1_sel:WORD_1
	v_fma_f16 v63, -0.5, v73, v63
	v_fma_f16 v65, v40, v111, -v65
	v_mul_f16_sdwa v40, v56, v87 dst_sel:DWORD dst_unused:UNUSED_PAD src0_sel:DWORD src1_sel:WORD_1
	v_fmac_f16_e32 v60, v59, v86
	v_fmac_f16_e32 v61, v56, v87
	s_waitcnt vmcnt(0)
	v_mul_f16_sdwa v56, v9, v88 dst_sel:DWORD dst_unused:UNUSED_PAD src0_sel:DWORD src1_sel:WORD_1
	v_mul_f16_sdwa v59, v8, v89 dst_sel:DWORD dst_unused:UNUSED_PAD src0_sel:DWORD src1_sel:WORD_1
	v_sub_f16_e32 v41, v41, v42
	v_fma_f16 v84, -0.5, v44, v100
	v_add_f16_e32 v70, v70, v42
	v_fma_f16 v62, -0.5, v71, v62
	v_add_f16_e32 v67, v67, v68
	v_sub_f16_e32 v42, v74, v83
	v_add_f16_e32 v44, v104, v64
	v_add_f16_e32 v68, v74, v83
	;; [unrolled: 1-line block ×3, first 2 shown]
	v_fma_f16 v39, v86, v115, -v39
	v_mul_f16_sdwa v74, v116, v88 dst_sel:DWORD dst_unused:UNUSED_PAD src0_sel:DWORD src1_sel:WORD_1
	v_mul_f16_sdwa v85, v93, v89 dst_sel:DWORD dst_unused:UNUSED_PAD src0_sel:DWORD src1_sel:WORD_1
	v_fmamk_f16 v73, v69, 0xbaee, v51
	v_fmac_f16_e32 v51, 0x3aee, v69
	v_fmamk_f16 v69, v38, 0x3aee, v63
	v_fmac_f16_e32 v63, 0xbaee, v38
	v_add_f16_e32 v38, v64, v65
	v_fma_f16 v40, v87, v92, -v40
	v_fma_f16 v56, v88, v116, -v56
	;; [unrolled: 1-line block ×3, first 2 shown]
	v_sub_f16_e32 v64, v64, v65
	v_add_f16_e32 v65, v44, v65
	v_add_f16_e32 v44, v105, v39
	v_fmac_f16_e32 v74, v9, v88
	v_fmac_f16_e32 v85, v8, v89
	v_fma_f16 v87, -0.5, v38, v104
	v_fma_f16 v58, -0.5, v68, v58
	v_add_f16_e32 v68, v71, v83
	v_add_f16_e32 v38, v39, v40
	;; [unrolled: 1-line block ×4, first 2 shown]
	v_sub_f16_e32 v39, v39, v40
	v_add_f16_e32 v89, v44, v40
	v_add_f16_e32 v40, v74, v85
	v_fmamk_f16 v86, v53, 0xbaee, v84
	v_fmac_f16_e32 v84, 0x3aee, v53
	v_fmamk_f16 v53, v41, 0x3aee, v62
	v_fmac_f16_e32 v62, 0xbaee, v41
	v_sub_f16_e32 v41, v60, v61
	v_add_f16_e32 v60, v57, v60
	v_fmamk_f16 v88, v64, 0x3aee, v58
	v_fmac_f16_e32 v58, 0xbaee, v64
	v_fma_f16 v64, -0.5, v38, v105
	v_fma_f16 v57, -0.5, v71, v57
	v_sub_f16_e32 v9, v74, v85
	v_fma_f16 v71, -0.5, v8, v106
	v_fmamk_f16 v83, v42, 0xbaee, v87
	v_fmac_f16_e32 v87, 0x3aee, v42
	v_sub_f16_e32 v42, v56, v59
	v_add_f16_e32 v44, v10, v74
	v_fma_f16 v74, -0.5, v40, v10
	v_add_f16_e32 v38, v106, v56
	v_fmamk_f16 v56, v41, 0xbaee, v64
	v_fmac_f16_e32 v64, 0x3aee, v41
	v_fmamk_f16 v92, v9, 0xbaee, v71
	v_fmac_f16_e32 v71, 0x3aee, v9
	v_mad_u64_u32 v[8:9], null, s2, v30, 0
	v_mad_u64_u32 v[40:41], null, s3, v31, v[35:36]
	v_fmamk_f16 v93, v42, 0x3aee, v74
	v_fmac_f16_e32 v74, 0xbaee, v42
	v_mad_u64_u32 v[41:42], null, s2, v27, 0
	v_mad_u64_u32 v[9:10], null, s3, v30, v[9:10]
	v_add_f16_e32 v60, v60, v61
	v_fmamk_f16 v61, v39, 0x3aee, v57
	v_fmac_f16_e32 v57, 0xbaee, v39
	v_add_f16_e32 v59, v38, v59
	v_lshlrev_b64 v[38:39], 2, v[54:55]
	v_mov_b32_e32 v10, v42
	v_add_f16_e32 v85, v44, v85
	v_pack_b32_f16 v44, v82, v81
	global_store_dword v[45:46], v43, off
	global_store_dword v[36:37], v44, off
	v_mad_u64_u32 v[35:36], null, s3, v27, v[10:11]
	v_add_co_u32 v38, vcc_lo, v0, v38
	v_mad_u64_u32 v[36:37], null, s2, v29, 0
	v_add_co_ci_u32_e32 v39, vcc_lo, v1, v39, vcc_lo
	v_pack_b32_f16 v30, v50, v77
	v_mov_b32_e32 v91, v40
	v_mov_b32_e32 v42, v35
	v_lshlrev_b64 v[8:9], 2, v[8:9]
	v_mov_b32_e32 v10, v37
	global_store_dword v[38:39], v30, off
	v_lshlrev_b64 v[30:31], 2, v[90:91]
	v_mad_u64_u32 v[38:39], null, s2, v28, 0
	v_lshlrev_b64 v[40:41], 2, v[41:42]
	v_mad_u64_u32 v[42:43], null, s3, v29, v[10:11]
	v_add_co_u32 v30, vcc_lo, v0, v30
	v_add_co_ci_u32_e32 v31, vcc_lo, v1, v31, vcc_lo
	v_add_co_u32 v8, vcc_lo, v0, v8
	v_mov_b32_e32 v10, v39
	v_add_co_ci_u32_e32 v9, vcc_lo, v1, v9, vcc_lo
	v_mad_u64_u32 v[43:44], null, s2, v24, 0
	v_add_co_u32 v39, vcc_lo, v0, v40
	v_pack_b32_f16 v45, v75, v76
	v_add_co_ci_u32_e32 v40, vcc_lo, v1, v41, vcc_lo
	v_mad_u64_u32 v[27:28], null, s3, v28, v[10:11]
	v_pack_b32_f16 v10, v47, v48
	v_mov_b32_e32 v37, v42
	v_pack_b32_f16 v35, v78, v80
	global_store_dword v[30:31], v45, off
	global_store_dword v[8:9], v35, off
	;; [unrolled: 1-line block ×3, first 2 shown]
	v_lshlrev_b64 v[9:10], 2, v[36:37]
	v_mov_b32_e32 v8, v44
	v_mov_b32_e32 v39, v27
	v_mad_u64_u32 v[35:36], null, s2, v25, 0
	v_pack_b32_f16 v41, v49, v95
	v_mad_u64_u32 v[27:28], null, s3, v24, v[8:9]
	v_mad_u64_u32 v[28:29], null, s2, v26, 0
	v_add_co_u32 v8, vcc_lo, v0, v9
	v_add_co_ci_u32_e32 v9, vcc_lo, v1, v10, vcc_lo
	v_mov_b32_e32 v44, v27
	v_lshlrev_b64 v[30:31], 2, v[38:39]
	v_mov_b32_e32 v10, v29
	v_mad_u64_u32 v[39:40], null, s2, v21, 0
	v_lshlrev_b64 v[37:38], 2, v[43:44]
	v_pack_b32_f16 v42, v79, v72
	v_mad_u64_u32 v[26:27], null, s3, v26, v[10:11]
	v_add_co_u32 v30, vcc_lo, v0, v30
	v_mov_b32_e32 v10, v36
	v_add_co_ci_u32_e32 v31, vcc_lo, v1, v31, vcc_lo
	v_add_co_u32 v36, vcc_lo, v0, v37
	v_add_co_ci_u32_e32 v37, vcc_lo, v1, v38, vcc_lo
	v_mad_u64_u32 v[24:25], null, s3, v25, v[10:11]
	v_pack_b32_f16 v10, v85, v59
	v_mov_b32_e32 v29, v26
	global_store_dword v[8:9], v41, off
	global_store_dword v[30:31], v42, off
	v_mov_b32_e32 v8, v40
	v_pack_b32_f16 v41, v74, v71
	global_store_dword v[36:37], v10, off
	v_lshlrev_b64 v[9:10], 2, v[28:29]
	v_mov_b32_e32 v36, v24
	v_mad_u64_u32 v[29:30], null, s2, v22, 0
	v_mad_u64_u32 v[37:38], null, s2, v18, 0
	;; [unrolled: 1-line block ×4, first 2 shown]
	v_add_co_u32 v8, vcc_lo, v0, v9
	v_add_co_ci_u32_e32 v9, vcc_lo, v1, v10, vcc_lo
	v_mov_b32_e32 v40, v24
	v_lshlrev_b64 v[27:28], 2, v[35:36]
	v_mov_b32_e32 v10, v26
	v_pack_b32_f16 v42, v93, v92
	v_pack_b32_f16 v2, v3, v2
	v_lshlrev_b64 v[35:36], 2, v[39:40]
	v_pack_b32_f16 v3, v7, v6
	v_mad_u64_u32 v[23:24], null, s3, v23, v[10:11]
	v_mov_b32_e32 v10, v30
	v_add_co_u32 v27, vcc_lo, v0, v27
	v_add_co_ci_u32_e32 v28, vcc_lo, v1, v28, vcc_lo
	v_mad_u64_u32 v[21:22], null, s3, v22, v[10:11]
	v_mov_b32_e32 v26, v23
	v_add_co_u32 v30, vcc_lo, v0, v35
	global_store_dword v[8:9], v41, off
	global_store_dword v[27:28], v42, off
	v_add_co_ci_u32_e32 v31, vcc_lo, v1, v36, vcc_lo
	v_lshlrev_b64 v[9:10], 2, v[25:26]
	v_pack_b32_f16 v22, v60, v89
	v_mov_b32_e32 v8, v38
	v_mad_u64_u32 v[24:25], null, s2, v19, 0
	v_mad_u64_u32 v[26:27], null, s2, v20, 0
	global_store_dword v[30:31], v22, off
	v_mov_b32_e32 v30, v21
	v_mad_u64_u32 v[21:22], null, s3, v18, v[8:9]
	v_add_co_u32 v8, vcc_lo, v0, v9
	v_add_co_ci_u32_e32 v9, vcc_lo, v1, v10, vcc_lo
	v_mul_hi_u32 v10, 0xc22e4507, v17
	v_lshlrev_b64 v[22:23], 2, v[29:30]
	v_mov_b32_e32 v38, v21
	v_pack_b32_f16 v31, v57, v64
	v_lshlrev_b64 v[28:29], 2, v[37:38]
	v_lshrrev_b32_e32 v18, 10, v10
	v_mov_b32_e32 v10, v25
	v_add_co_u32 v21, vcc_lo, v0, v22
	v_add_co_ci_u32_e32 v22, vcc_lo, v1, v23, vcc_lo
	v_mad_u32_u24 v35, 0xa8c, v18, v17
	v_mad_u64_u32 v[17:18], null, s3, v19, v[10:11]
	v_mov_b32_e32 v10, v27
	v_add_co_u32 v27, vcc_lo, v0, v28
	v_mad_u64_u32 v[18:19], null, s2, v35, 0
	v_pack_b32_f16 v23, v61, v56
	v_mov_b32_e32 v25, v17
	v_add_co_ci_u32_e32 v28, vcc_lo, v1, v29, vcc_lo
	v_pack_b32_f16 v17, v68, v65
	v_mad_u64_u32 v[29:30], null, s3, v20, v[10:11]
	global_store_dword v[8:9], v31, off
	global_store_dword v[21:22], v23, off
	v_lshlrev_b64 v[9:10], 2, v[24:25]
	v_mov_b32_e32 v8, v19
	global_store_dword v[27:28], v17, off
	v_add_nc_u32_e32 v28, 0x546, v35
	v_add_nc_u32_e32 v30, 0xa8c, v35
	v_mov_b32_e32 v27, v29
	v_mad_u64_u32 v[19:20], null, s3, v35, v[8:9]
	v_mad_u64_u32 v[22:23], null, s2, v28, 0
	v_add_co_u32 v8, vcc_lo, v0, v9
	v_add_co_ci_u32_e32 v9, vcc_lo, v1, v10, vcc_lo
	v_lshlrev_b64 v[17:18], 2, v[18:19]
	v_mul_hi_u32 v19, 0xc22e4507, v16
	v_mov_b32_e32 v10, v23
	v_lshlrev_b64 v[20:21], 2, v[26:27]
	v_mad_u64_u32 v[24:25], null, s2, v30, 0
	v_pack_b32_f16 v29, v58, v87
	v_mad_u64_u32 v[26:27], null, s3, v28, v[10:11]
	v_lshrrev_b32_e32 v19, 10, v19
	v_add_co_u32 v20, vcc_lo, v0, v20
	v_add_co_ci_u32_e32 v21, vcc_lo, v1, v21, vcc_lo
	v_mov_b32_e32 v10, v25
	v_add_co_u32 v17, vcc_lo, v0, v17
	v_mov_b32_e32 v23, v26
	v_mad_u32_u24 v26, 0xa8c, v19, v16
	v_pack_b32_f16 v31, v88, v83
	v_add_co_ci_u32_e32 v18, vcc_lo, v1, v18, vcc_lo
	v_pack_b32_f16 v25, v67, v70
	v_mad_u64_u32 v[27:28], null, s3, v30, v[10:11]
	global_store_dword v[8:9], v29, off
	global_store_dword v[20:21], v31, off
	;; [unrolled: 1-line block ×3, first 2 shown]
	v_mad_u64_u32 v[16:17], null, s2, v26, 0
	v_add_nc_u32_e32 v28, 0x546, v26
	v_add_nc_u32_e32 v29, 0xa8c, v26
	v_lshlrev_b64 v[8:9], 2, v[22:23]
	v_mov_b32_e32 v25, v27
	v_pack_b32_f16 v27, v62, v84
	v_mad_u64_u32 v[18:19], null, s2, v28, 0
	v_mov_b32_e32 v10, v17
	v_lshlrev_b64 v[20:21], 2, v[24:25]
	v_add_co_u32 v8, vcc_lo, v0, v8
	v_add_co_ci_u32_e32 v9, vcc_lo, v1, v9, vcc_lo
	v_mad_u64_u32 v[22:23], null, s3, v26, v[10:11]
	v_mov_b32_e32 v17, v19
	v_mad_u64_u32 v[23:24], null, s2, v29, 0
	v_mul_hi_u32 v19, 0xc22e4507, v15
	global_store_dword v[8:9], v27, off
	v_mad_u64_u32 v[25:26], null, s3, v28, v[17:18]
	v_mov_b32_e32 v17, v22
	v_add_co_u32 v20, vcc_lo, v0, v20
	v_mov_b32_e32 v10, v24
	v_lshrrev_b32_e32 v22, 10, v19
	v_lshlrev_b64 v[8:9], 2, v[16:17]
	v_mov_b32_e32 v19, v25
	v_add_co_ci_u32_e32 v21, vcc_lo, v1, v21, vcc_lo
	v_mad_u64_u32 v[24:25], null, s3, v29, v[10:11]
	v_mad_u32_u24 v25, 0xa8c, v22, v15
	v_lshlrev_b64 v[15:16], 2, v[18:19]
	v_pack_b32_f16 v26, v53, v86
	v_add_co_u32 v8, vcc_lo, v0, v8
	v_mad_u64_u32 v[17:18], null, s2, v25, 0
	global_store_dword v[20:21], v26, off
	v_lshlrev_b64 v[19:20], 2, v[23:24]
	v_add_co_ci_u32_e32 v9, vcc_lo, v1, v9, vcc_lo
	v_add_co_u32 v15, vcc_lo, v0, v15
	v_mov_b32_e32 v10, v18
	v_mul_hi_u32 v23, 0xc22e4507, v14
	v_add_co_ci_u32_e32 v16, vcc_lo, v1, v16, vcc_lo
	v_pack_b32_f16 v26, v52, v66
	v_mad_u64_u32 v[21:22], null, s3, v25, v[10:11]
	v_add_co_u32 v19, vcc_lo, v0, v19
	v_pack_b32_f16 v10, v63, v51
	v_add_co_ci_u32_e32 v20, vcc_lo, v1, v20, vcc_lo
	v_pack_b32_f16 v22, v69, v73
	v_mov_b32_e32 v18, v21
	v_add_nc_u32_e32 v21, 0x546, v25
	global_store_dword v[8:9], v26, off
	global_store_dword v[15:16], v10, off
	;; [unrolled: 1-line block ×3, first 2 shown]
	v_lshrrev_b32_e32 v10, 10, v23
	v_add_nc_u32_e32 v24, 0xa8c, v25
	v_lshlrev_b64 v[8:9], 2, v[17:18]
	v_mad_u64_u32 v[15:16], null, s2, v21, 0
	v_mad_u32_u24 v25, 0xa8c, v10, v14
	v_mad_u64_u32 v[17:18], null, s2, v24, 0
	v_add_co_u32 v8, vcc_lo, v0, v8
	v_mad_u64_u32 v[19:20], null, s2, v25, 0
	v_mov_b32_e32 v10, v16
	v_add_nc_u32_e32 v26, 0x546, v25
	v_mov_b32_e32 v14, v18
	v_add_co_ci_u32_e32 v9, vcc_lo, v1, v9, vcc_lo
	v_mad_u64_u32 v[21:22], null, s3, v21, v[10:11]
	v_mov_b32_e32 v10, v20
	v_mad_u64_u32 v[22:23], null, s3, v24, v[14:15]
	v_mad_u64_u32 v[23:24], null, s2, v26, 0
	v_pack_b32_f16 v18, v34, v33
	v_mov_b32_e32 v16, v21
	v_mad_u64_u32 v[20:21], null, s3, v25, v[10:11]
	v_add_nc_u32_e32 v25, 0xa8c, v25
	global_store_dword v[8:9], v18, off
	v_lshlrev_b64 v[8:9], 2, v[15:16]
	v_mov_b32_e32 v10, v24
	v_mov_b32_e32 v18, v22
	v_mad_u64_u32 v[14:15], null, s2, v25, 0
	v_mad_u64_u32 v[21:22], null, s3, v26, v[10:11]
	v_pack_b32_f16 v22, v12, v11
	v_lshlrev_b64 v[11:12], 2, v[17:18]
	v_lshlrev_b64 v[16:17], 2, v[19:20]
	v_mov_b32_e32 v10, v15
	v_add_co_u32 v8, vcc_lo, v0, v8
	v_mov_b32_e32 v24, v21
	v_add_co_ci_u32_e32 v9, vcc_lo, v1, v9, vcc_lo
	v_mad_u64_u32 v[18:19], null, s3, v25, v[10:11]
	v_add_co_u32 v10, vcc_lo, v0, v11
	v_add_co_ci_u32_e32 v11, vcc_lo, v1, v12, vcc_lo
	v_pack_b32_f16 v19, v32, v13
	v_lshlrev_b64 v[12:13], 2, v[23:24]
	v_mov_b32_e32 v15, v18
	v_add_co_u32 v16, vcc_lo, v0, v16
	v_pack_b32_f16 v18, v5, v4
	v_add_co_ci_u32_e32 v17, vcc_lo, v1, v17, vcc_lo
	v_lshlrev_b64 v[4:5], 2, v[14:15]
	v_add_co_u32 v12, vcc_lo, v0, v12
	v_add_co_ci_u32_e32 v13, vcc_lo, v1, v13, vcc_lo
	v_add_co_u32 v0, vcc_lo, v0, v4
	v_add_co_ci_u32_e32 v1, vcc_lo, v1, v5, vcc_lo
	global_store_dword v[8:9], v22, off
	global_store_dword v[10:11], v19, off
	;; [unrolled: 1-line block ×5, first 2 shown]
.LBB0_15:
	s_endpgm
	.section	.rodata,"a",@progbits
	.p2align	6, 0x0
	.amdhsa_kernel fft_rtc_back_len4050_factors_10_5_3_3_3_3_wgs_135_tpt_135_halfLds_half_ip_CI_sbrr_dirReg
		.amdhsa_group_segment_fixed_size 0
		.amdhsa_private_segment_fixed_size 0
		.amdhsa_kernarg_size 88
		.amdhsa_user_sgpr_count 6
		.amdhsa_user_sgpr_private_segment_buffer 1
		.amdhsa_user_sgpr_dispatch_ptr 0
		.amdhsa_user_sgpr_queue_ptr 0
		.amdhsa_user_sgpr_kernarg_segment_ptr 1
		.amdhsa_user_sgpr_dispatch_id 0
		.amdhsa_user_sgpr_flat_scratch_init 0
		.amdhsa_user_sgpr_private_segment_size 0
		.amdhsa_wavefront_size32 1
		.amdhsa_uses_dynamic_stack 0
		.amdhsa_system_sgpr_private_segment_wavefront_offset 0
		.amdhsa_system_sgpr_workgroup_id_x 1
		.amdhsa_system_sgpr_workgroup_id_y 0
		.amdhsa_system_sgpr_workgroup_id_z 0
		.amdhsa_system_sgpr_workgroup_info 0
		.amdhsa_system_vgpr_workitem_id 0
		.amdhsa_next_free_vgpr 155
		.amdhsa_next_free_sgpr 23
		.amdhsa_reserve_vcc 1
		.amdhsa_reserve_flat_scratch 0
		.amdhsa_float_round_mode_32 0
		.amdhsa_float_round_mode_16_64 0
		.amdhsa_float_denorm_mode_32 3
		.amdhsa_float_denorm_mode_16_64 3
		.amdhsa_dx10_clamp 1
		.amdhsa_ieee_mode 1
		.amdhsa_fp16_overflow 0
		.amdhsa_workgroup_processor_mode 1
		.amdhsa_memory_ordered 1
		.amdhsa_forward_progress 0
		.amdhsa_shared_vgpr_count 0
		.amdhsa_exception_fp_ieee_invalid_op 0
		.amdhsa_exception_fp_denorm_src 0
		.amdhsa_exception_fp_ieee_div_zero 0
		.amdhsa_exception_fp_ieee_overflow 0
		.amdhsa_exception_fp_ieee_underflow 0
		.amdhsa_exception_fp_ieee_inexact 0
		.amdhsa_exception_int_div_zero 0
	.end_amdhsa_kernel
	.text
.Lfunc_end0:
	.size	fft_rtc_back_len4050_factors_10_5_3_3_3_3_wgs_135_tpt_135_halfLds_half_ip_CI_sbrr_dirReg, .Lfunc_end0-fft_rtc_back_len4050_factors_10_5_3_3_3_3_wgs_135_tpt_135_halfLds_half_ip_CI_sbrr_dirReg
                                        ; -- End function
	.section	.AMDGPU.csdata,"",@progbits
; Kernel info:
; codeLenInByte = 24180
; NumSgprs: 25
; NumVgprs: 155
; ScratchSize: 0
; MemoryBound: 0
; FloatMode: 240
; IeeeMode: 1
; LDSByteSize: 0 bytes/workgroup (compile time only)
; SGPRBlocks: 3
; VGPRBlocks: 19
; NumSGPRsForWavesPerEU: 25
; NumVGPRsForWavesPerEU: 155
; Occupancy: 6
; WaveLimiterHint : 1
; COMPUTE_PGM_RSRC2:SCRATCH_EN: 0
; COMPUTE_PGM_RSRC2:USER_SGPR: 6
; COMPUTE_PGM_RSRC2:TRAP_HANDLER: 0
; COMPUTE_PGM_RSRC2:TGID_X_EN: 1
; COMPUTE_PGM_RSRC2:TGID_Y_EN: 0
; COMPUTE_PGM_RSRC2:TGID_Z_EN: 0
; COMPUTE_PGM_RSRC2:TIDIG_COMP_CNT: 0
	.text
	.p2alignl 6, 3214868480
	.fill 48, 4, 3214868480
	.type	__hip_cuid_67c678cf2e101823,@object ; @__hip_cuid_67c678cf2e101823
	.section	.bss,"aw",@nobits
	.globl	__hip_cuid_67c678cf2e101823
__hip_cuid_67c678cf2e101823:
	.byte	0                               ; 0x0
	.size	__hip_cuid_67c678cf2e101823, 1

	.ident	"AMD clang version 19.0.0git (https://github.com/RadeonOpenCompute/llvm-project roc-6.4.0 25133 c7fe45cf4b819c5991fe208aaa96edf142730f1d)"
	.section	".note.GNU-stack","",@progbits
	.addrsig
	.addrsig_sym __hip_cuid_67c678cf2e101823
	.amdgpu_metadata
---
amdhsa.kernels:
  - .args:
      - .actual_access:  read_only
        .address_space:  global
        .offset:         0
        .size:           8
        .value_kind:     global_buffer
      - .offset:         8
        .size:           8
        .value_kind:     by_value
      - .actual_access:  read_only
        .address_space:  global
        .offset:         16
        .size:           8
        .value_kind:     global_buffer
      - .actual_access:  read_only
        .address_space:  global
        .offset:         24
        .size:           8
        .value_kind:     global_buffer
      - .offset:         32
        .size:           8
        .value_kind:     by_value
      - .actual_access:  read_only
        .address_space:  global
        .offset:         40
        .size:           8
        .value_kind:     global_buffer
      - .actual_access:  read_only
        .address_space:  global
        .offset:         48
        .size:           8
        .value_kind:     global_buffer
      - .offset:         56
        .size:           4
        .value_kind:     by_value
      - .actual_access:  read_only
        .address_space:  global
        .offset:         64
        .size:           8
        .value_kind:     global_buffer
      - .actual_access:  read_only
        .address_space:  global
        .offset:         72
        .size:           8
        .value_kind:     global_buffer
      - .address_space:  global
        .offset:         80
        .size:           8
        .value_kind:     global_buffer
    .group_segment_fixed_size: 0
    .kernarg_segment_align: 8
    .kernarg_segment_size: 88
    .language:       OpenCL C
    .language_version:
      - 2
      - 0
    .max_flat_workgroup_size: 135
    .name:           fft_rtc_back_len4050_factors_10_5_3_3_3_3_wgs_135_tpt_135_halfLds_half_ip_CI_sbrr_dirReg
    .private_segment_fixed_size: 0
    .sgpr_count:     25
    .sgpr_spill_count: 0
    .symbol:         fft_rtc_back_len4050_factors_10_5_3_3_3_3_wgs_135_tpt_135_halfLds_half_ip_CI_sbrr_dirReg.kd
    .uniform_work_group_size: 1
    .uses_dynamic_stack: false
    .vgpr_count:     155
    .vgpr_spill_count: 0
    .wavefront_size: 32
    .workgroup_processor_mode: 1
amdhsa.target:   amdgcn-amd-amdhsa--gfx1030
amdhsa.version:
  - 1
  - 2
...

	.end_amdgpu_metadata
